;; amdgpu-corpus repo=ROCm/rocFFT kind=compiled arch=gfx1100 opt=O3
	.text
	.amdgcn_target "amdgcn-amd-amdhsa--gfx1100"
	.amdhsa_code_object_version 6
	.protected	bluestein_single_fwd_len819_dim1_sp_op_CI_CI ; -- Begin function bluestein_single_fwd_len819_dim1_sp_op_CI_CI
	.globl	bluestein_single_fwd_len819_dim1_sp_op_CI_CI
	.p2align	8
	.type	bluestein_single_fwd_len819_dim1_sp_op_CI_CI,@function
bluestein_single_fwd_len819_dim1_sp_op_CI_CI: ; @bluestein_single_fwd_len819_dim1_sp_op_CI_CI
; %bb.0:
	s_load_b128 s[4:7], s[0:1], 0x28
	v_mul_u32_u24_e32 v1, 0x231, v0
	s_mov_b32 s2, exec_lo
	v_mov_b32_e32 v61, 0
	s_delay_alu instid0(VALU_DEP_2) | instskip(NEXT) | instid1(VALU_DEP_1)
	v_lshrrev_b32_e32 v1, 16, v1
	v_add_nc_u32_e32 v60, s15, v1
	s_waitcnt lgkmcnt(0)
	s_delay_alu instid0(VALU_DEP_1)
	v_cmpx_gt_u64_e64 s[4:5], v[60:61]
	s_cbranch_execz .LBB0_23
; %bb.1:
	s_clause 0x1
	s_load_b64 s[14:15], s[0:1], 0x0
	s_load_b64 s[12:13], s[0:1], 0x38
	v_mul_lo_u16 v1, 0x75, v1
	s_delay_alu instid0(VALU_DEP_1) | instskip(NEXT) | instid1(VALU_DEP_1)
	v_sub_nc_u16 v0, v0, v1
	v_and_b32_e32 v63, 0xffff, v0
	v_cmp_gt_u16_e32 vcc_lo, 0x5b, v0
	s_delay_alu instid0(VALU_DEP_2)
	v_lshlrev_b32_e32 v64, 3, v63
	s_and_saveexec_b32 s3, vcc_lo
	s_cbranch_execz .LBB0_3
; %bb.2:
	s_load_b64 s[4:5], s[0:1], 0x18
	s_waitcnt lgkmcnt(0)
	v_add_co_u32 v16, s2, s14, v64
	s_delay_alu instid0(VALU_DEP_1)
	v_add_co_ci_u32_e64 v17, null, s15, 0, s2
	v_add_nc_u32_e32 v38, 0x400, v64
	v_add_nc_u32_e32 v40, 0x1000, v64
	;; [unrolled: 1-line block ×3, first 2 shown]
	s_load_b128 s[8:11], s[4:5], 0x0
	s_waitcnt lgkmcnt(0)
	v_mad_u64_u32 v[0:1], null, s10, v60, 0
	v_mad_u64_u32 v[2:3], null, s8, v63, 0
	s_mul_i32 s4, s9, 0x2d8
	s_mul_hi_u32 s5, s8, 0x2d8
	s_delay_alu instid0(SALU_CYCLE_1) | instskip(NEXT) | instid1(VALU_DEP_1)
	s_add_i32 s5, s5, s4
	v_mad_u64_u32 v[4:5], null, s11, v60, v[1:2]
	s_delay_alu instid0(VALU_DEP_1)
	v_mad_u64_u32 v[5:6], null, s9, v63, v[3:4]
	v_mov_b32_e32 v1, v4
	s_clause 0x3
	global_load_b64 v[6:7], v64, s[14:15]
	global_load_b64 v[8:9], v64, s[14:15] offset:728
	global_load_b64 v[10:11], v64, s[14:15] offset:1456
	;; [unrolled: 1-line block ×3, first 2 shown]
	v_lshlrev_b64 v[0:1], 3, v[0:1]
	v_mov_b32_e32 v3, v5
	s_clause 0x1
	global_load_b64 v[4:5], v64, s[14:15] offset:2912
	global_load_b64 v[14:15], v64, s[14:15] offset:3640
	v_lshlrev_b64 v[2:3], 3, v[2:3]
	v_add_co_u32 v0, s2, s6, v0
	s_delay_alu instid0(VALU_DEP_1) | instskip(SKIP_1) | instid1(VALU_DEP_2)
	v_add_co_ci_u32_e64 v1, s2, s7, v1, s2
	s_mul_i32 s6, s8, 0x2d8
	v_add_co_u32 v0, s2, v0, v2
	s_delay_alu instid0(VALU_DEP_1) | instskip(NEXT) | instid1(VALU_DEP_2)
	v_add_co_ci_u32_e64 v1, s2, v1, v3, s2
	v_add_co_u32 v2, s2, v0, s6
	s_delay_alu instid0(VALU_DEP_1) | instskip(SKIP_1) | instid1(VALU_DEP_1)
	v_add_co_ci_u32_e64 v3, s2, s5, v1, s2
	v_add_co_u32 v16, s2, 0x1000, v16
	v_add_co_ci_u32_e64 v17, s2, 0, v17, s2
	s_delay_alu instid0(VALU_DEP_4) | instskip(NEXT) | instid1(VALU_DEP_1)
	v_add_co_u32 v18, s2, v2, s6
	v_add_co_ci_u32_e64 v19, s2, s5, v3, s2
	global_load_b64 v[20:21], v[16:17], off offset:272
	v_add_co_u32 v22, s2, v18, s6
	s_delay_alu instid0(VALU_DEP_1) | instskip(SKIP_4) | instid1(VALU_DEP_1)
	v_add_co_ci_u32_e64 v23, s2, s5, v19, s2
	s_clause 0x1
	global_load_b64 v[0:1], v[0:1], off
	global_load_b64 v[2:3], v[2:3], off
	v_add_co_u32 v24, s2, v22, s6
	v_add_co_ci_u32_e64 v25, s2, s5, v23, s2
	s_clause 0x1
	global_load_b64 v[18:19], v[18:19], off
	global_load_b64 v[22:23], v[22:23], off
	v_add_co_u32 v26, s2, v24, s6
	s_delay_alu instid0(VALU_DEP_1) | instskip(SKIP_2) | instid1(VALU_DEP_1)
	v_add_co_ci_u32_e64 v27, s2, s5, v25, s2
	global_load_b64 v[24:25], v[24:25], off
	v_add_co_u32 v28, s2, v26, s6
	v_add_co_ci_u32_e64 v29, s2, s5, v27, s2
	global_load_b64 v[26:27], v[26:27], off
	v_add_co_u32 v30, s2, v28, s6
	s_delay_alu instid0(VALU_DEP_1) | instskip(SKIP_2) | instid1(VALU_DEP_1)
	v_add_co_ci_u32_e64 v31, s2, s5, v29, s2
	global_load_b64 v[28:29], v[28:29], off
	v_add_co_u32 v32, s2, v30, s6
	v_add_co_ci_u32_e64 v33, s2, s5, v31, s2
	global_load_b64 v[30:31], v[30:31], off
	s_clause 0x1
	global_load_b64 v[34:35], v[16:17], off offset:1000
	global_load_b64 v[16:17], v[16:17], off offset:1728
	global_load_b64 v[32:33], v[32:33], off
	s_waitcnt vmcnt(10)
	v_mul_f32_e32 v37, v0, v7
	s_waitcnt vmcnt(9)
	v_dual_mul_f32 v36, v1, v7 :: v_dual_mul_f32 v7, v3, v9
	s_delay_alu instid0(VALU_DEP_2) | instskip(NEXT) | instid1(VALU_DEP_2)
	v_fma_f32 v37, v1, v6, -v37
	v_dual_fmac_f32 v36, v0, v6 :: v_dual_mul_f32 v1, v2, v9
	s_waitcnt vmcnt(8)
	s_delay_alu instid0(VALU_DEP_3)
	v_dual_mul_f32 v0, v19, v11 :: v_dual_fmac_f32 v7, v2, v8
	s_waitcnt vmcnt(6)
	v_dual_mul_f32 v6, v18, v11 :: v_dual_mul_f32 v9, v25, v5
	v_mul_f32_e32 v2, v23, v13
	v_fma_f32 v8, v3, v8, -v1
	v_mul_f32_e32 v3, v22, v13
	v_fmac_f32_e32 v0, v18, v10
	v_fma_f32 v1, v19, v10, -v6
	v_fmac_f32_e32 v2, v22, v12
	v_mul_f32_e32 v6, v24, v5
	v_fma_f32 v3, v23, v12, -v3
	s_waitcnt vmcnt(5)
	v_mul_f32_e32 v5, v27, v15
	s_waitcnt vmcnt(4)
	v_dual_mul_f32 v11, v29, v21 :: v_dual_mul_f32 v12, v26, v15
	v_fmac_f32_e32 v9, v24, v4
	v_fma_f32 v10, v25, v4, -v6
	v_dual_fmac_f32 v5, v26, v14 :: v_dual_mul_f32 v4, v28, v21
	s_delay_alu instid0(VALU_DEP_4)
	v_fma_f32 v6, v27, v14, -v12
	s_waitcnt vmcnt(2)
	v_dual_fmac_f32 v11, v28, v20 :: v_dual_mul_f32 v14, v30, v35
	v_mul_f32_e32 v13, v31, v35
	s_waitcnt vmcnt(0)
	v_mul_f32_e32 v15, v33, v17
	v_mul_f32_e32 v17, v32, v17
	v_fma_f32 v12, v29, v20, -v4
	v_fma_f32 v14, v31, v34, -v14
	v_fmac_f32_e32 v13, v30, v34
	v_fmac_f32_e32 v15, v32, v16
	v_fma_f32 v16, v33, v16, -v17
	ds_store_2addr_b64 v64, v[36:37], v[7:8] offset1:91
	ds_store_2addr_b64 v38, v[0:1], v[2:3] offset0:54 offset1:145
	ds_store_2addr_b64 v39, v[9:10], v[5:6] offset0:108 offset1:199
	;; [unrolled: 1-line block ×3, first 2 shown]
	ds_store_b64 v64, v[15:16] offset:5824
.LBB0_3:
	s_or_b32 exec_lo, exec_lo, s3
	s_clause 0x1
	s_load_b64 s[4:5], s[0:1], 0x20
	s_load_b64 s[2:3], s[0:1], 0x8
	v_mov_b32_e32 v2, 0
	v_mov_b32_e32 v3, 0
	s_waitcnt lgkmcnt(0)
	s_barrier
	buffer_gl0_inv
                                        ; implicit-def: $vgpr14
                                        ; implicit-def: $vgpr16
	v_dual_mov_b32 v9, v3 :: v_dual_mov_b32 v8, v2
	v_dual_mov_b32 v11, v3 :: v_dual_mov_b32 v10, v2
	;; [unrolled: 1-line block ×3, first 2 shown]
	s_and_saveexec_b32 s0, vcc_lo
	s_cbranch_execz .LBB0_5
; %bb.4:
	v_add_nc_u32_e32 v4, 0x400, v64
	v_add_nc_u32_e32 v5, 0x800, v64
	;; [unrolled: 1-line block ×3, first 2 shown]
	ds_load_2addr_b64 v[0:3], v64 offset1:91
	ds_load_2addr_b64 v[8:11], v4 offset0:54 offset1:145
	ds_load_2addr_b64 v[4:7], v5 offset0:108 offset1:199
	;; [unrolled: 1-line block ×3, first 2 shown]
	ds_load_b64 v[16:17], v64 offset:5824
.LBB0_5:
	s_or_b32 exec_lo, exec_lo, s0
	s_waitcnt lgkmcnt(1)
	v_dual_sub_f32 v19, v8, v14 :: v_dual_sub_f32 v18, v9, v15
	s_waitcnt lgkmcnt(0)
	v_dual_add_f32 v21, v16, v2 :: v_dual_sub_f32 v20, v2, v16
	v_sub_f32_e32 v16, v3, v17
	s_delay_alu instid0(VALU_DEP_3)
	v_dual_mul_f32 v26, 0x3f7c1c5c, v19 :: v_dual_sub_f32 v25, v10, v12
	v_mul_f32_e32 v27, 0x3f7c1c5c, v18
	v_dual_add_f32 v17, v17, v3 :: v_dual_sub_f32 v24, v11, v13
	v_add_f32_e32 v22, v14, v8
	v_fmamk_f32 v2, v21, 0x3f441b7d, v0
	v_dual_fmac_f32 v26, 0x3f248dbb, v20 :: v_dual_add_f32 v23, v15, v9
	v_dual_fmac_f32 v27, 0x3f248dbb, v16 :: v_dual_add_f32 v10, v12, v10
	v_dual_sub_f32 v14, v4, v6 :: v_dual_add_f32 v11, v13, v11
	v_dual_sub_f32 v12, v5, v7 :: v_dual_add_f32 v15, v7, v5
	v_fmamk_f32 v3, v17, 0x3f441b7d, v1
	v_dual_add_f32 v13, v6, v4 :: v_dual_fmac_f32 v2, 0x3e31d0d4, v22
	s_delay_alu instid0(VALU_DEP_3) | instskip(NEXT) | instid1(VALU_DEP_4)
	v_mul_f32_e32 v9, 0x3f248dbb, v12
	v_fmamk_f32 v29, v15, 0x3f441b7d, v1
	s_delay_alu instid0(VALU_DEP_4)
	v_fmac_f32_e32 v3, 0x3e31d0d4, v23
	v_mul_f32_e32 v8, 0x3f248dbb, v14
	v_fmac_f32_e32 v2, -0.5, v10
	v_fmamk_f32 v28, v13, 0x3f441b7d, v0
	v_fma_f32 v31, 0x3f7c1c5c, v16, -v9
	v_fmac_f32_e32 v3, -0.5, v11
	v_fma_f32 v30, 0x3f7c1c5c, v20, -v8
	v_fmac_f32_e32 v29, 0x3e31d0d4, v17
	v_fmac_f32_e32 v28, 0x3e31d0d4, v21
	v_dual_fmac_f32 v26, 0x3f5db3d7, v25 :: v_dual_fmac_f32 v27, 0x3f5db3d7, v24
	s_delay_alu instid0(VALU_DEP_4) | instskip(NEXT) | instid1(VALU_DEP_3)
	v_dual_fmac_f32 v30, 0xbf5db3d7, v25 :: v_dual_fmac_f32 v31, 0xbf5db3d7, v24
	v_dual_fmac_f32 v29, -0.5, v11 :: v_dual_fmac_f32 v28, -0.5, v10
	s_delay_alu instid0(VALU_DEP_3) | instskip(SKIP_1) | instid1(VALU_DEP_4)
	v_dual_fmac_f32 v26, 0x3eaf1d44, v14 :: v_dual_fmac_f32 v27, 0x3eaf1d44, v12
	v_dual_fmac_f32 v2, 0xbf708fb2, v13 :: v_dual_fmac_f32 v3, 0xbf708fb2, v15
	;; [unrolled: 1-line block ×3, first 2 shown]
	s_delay_alu instid0(VALU_DEP_4) | instskip(NEXT) | instid1(VALU_DEP_3)
	v_dual_fmac_f32 v28, 0xbf708fb2, v22 :: v_dual_fmac_f32 v29, 0xbf708fb2, v23
	v_dual_add_f32 v8, v2, v27 :: v_dual_sub_f32 v9, v3, v26
	v_mul_lo_u16 v65, v63, 9
	s_delay_alu instid0(VALU_DEP_3) | instskip(NEXT) | instid1(VALU_DEP_3)
	v_dual_add_f32 v2, v31, v28 :: v_dual_sub_f32 v3, v29, v30
	v_fma_f32 v40, -2.0, v27, v8
	s_delay_alu instid0(VALU_DEP_4) | instskip(NEXT) | instid1(VALU_DEP_3)
	v_fma_f32 v41, 2.0, v26, v9
	v_fma_f32 v46, -2.0, v31, v2
	s_delay_alu instid0(VALU_DEP_4)
	v_fma_f32 v47, 2.0, v30, v3
	s_barrier
	buffer_gl0_inv
	s_and_saveexec_b32 s0, vcc_lo
	s_cbranch_execz .LBB0_7
; %bb.6:
	v_dual_mul_f32 v26, 0x3f7c1c5c, v14 :: v_dual_mul_f32 v29, 0.5, v11
	v_dual_fmamk_f32 v27, v23, 0x3f441b7d, v1 :: v_dual_mul_f32 v28, 0.5, v10
	v_fmamk_f32 v31, v22, 0x3f441b7d, v0
	v_dual_mul_f32 v25, 0x3f5db3d7, v25 :: v_dual_mul_f32 v24, 0x3f5db3d7, v24
	s_delay_alu instid0(VALU_DEP_4) | instskip(SKIP_1) | instid1(VALU_DEP_4)
	v_fma_f32 v26, 0xbf248dbb, v19, -v26
	v_dual_mul_f32 v30, 0x3f7c1c5c, v12 :: v_dual_add_f32 v23, v17, v23
	v_fmac_f32_e32 v31, 0x3e31d0d4, v13
	v_fmac_f32_e32 v27, 0x3e31d0d4, v15
	s_delay_alu instid0(VALU_DEP_4) | instskip(SKIP_2) | instid1(VALU_DEP_4)
	v_add_f32_e32 v25, v25, v26
	v_add_f32_e32 v14, v20, v14
	;; [unrolled: 1-line block ×3, first 2 shown]
	v_sub_f32_e32 v26, v27, v29
	v_fma_f32 v27, 0xbf248dbb, v18, -v30
	s_delay_alu instid0(VALU_DEP_4) | instskip(NEXT) | instid1(VALU_DEP_3)
	v_sub_f32_e32 v14, v14, v19
	v_fmac_f32_e32 v26, 0xbf708fb2, v17
	v_fmac_f32_e32 v25, 0x3eaf1d44, v20
	v_add_f32_e32 v29, v23, v11
	v_add_f32_e32 v17, v24, v27
	;; [unrolled: 1-line block ×3, first 2 shown]
	s_delay_alu instid0(VALU_DEP_4) | instskip(NEXT) | instid1(VALU_DEP_2)
	v_dual_add_f32 v11, v1, v11 :: v_dual_sub_f32 v22, v26, v25
	v_add_f32_e32 v26, v27, v10
	v_dual_sub_f32 v24, v31, v28 :: v_dual_add_f32 v5, v29, v5
	v_dual_add_f32 v10, v0, v10 :: v_dual_add_f32 v13, v27, v13
	s_delay_alu instid0(VALU_DEP_3) | instskip(NEXT) | instid1(VALU_DEP_3)
	v_add_f32_e32 v4, v26, v4
	v_fmac_f32_e32 v24, 0xbf708fb2, v21
	v_fmac_f32_e32 v17, 0x3eaf1d44, v16
	v_add_f32_e32 v7, v7, v5
	v_fmac_f32_e32 v10, -0.5, v13
	v_dual_add_f32 v4, v6, v4 :: v_dual_and_b32 v13, 0xffff, v65
	s_delay_alu instid0(VALU_DEP_4) | instskip(NEXT) | instid1(VALU_DEP_4)
	v_add_f32_e32 v21, v24, v17
	v_add_f32_e32 v7, v1, v7
	s_delay_alu instid0(VALU_DEP_3) | instskip(NEXT) | instid1(VALU_DEP_4)
	v_dual_add_f32 v1, v23, v15 :: v_dual_add_f32 v6, v0, v4
	v_lshlrev_b32_e32 v13, 3, v13
	v_fma_f32 v5, 2.0, v25, v22
	v_fma_f32 v4, -2.0, v17, v21
	s_delay_alu instid0(VALU_DEP_4) | instskip(SKIP_2) | instid1(VALU_DEP_3)
	v_fmac_f32_e32 v11, -0.5, v1
	v_sub_f32_e32 v1, v12, v18
	v_mul_f32_e32 v12, 0x3f5db3d7, v14
	v_fmac_f32_e32 v11, 0xbf5db3d7, v14
	s_delay_alu instid0(VALU_DEP_3) | instskip(SKIP_1) | instid1(VALU_DEP_3)
	v_mul_f32_e32 v14, 0x3f5db3d7, v1
	v_fmac_f32_e32 v10, 0x3f5db3d7, v1
	v_fma_f32 v1, 2.0, v12, v11
	s_delay_alu instid0(VALU_DEP_2)
	v_fma_f32 v0, -2.0, v14, v10
	ds_store_2addr_b64 v13, v[6:7], v[8:9] offset1:1
	ds_store_2addr_b64 v13, v[2:3], v[10:11] offset0:2 offset1:3
	ds_store_2addr_b64 v13, v[21:22], v[4:5] offset0:4 offset1:5
	;; [unrolled: 1-line block ×3, first 2 shown]
	ds_store_b64 v13, v[40:41] offset:64
.LBB0_7:
	s_or_b32 exec_lo, exec_lo, s0
	v_and_b32_e32 v0, 0xff, v63
	s_load_b128 s[4:7], s[4:5], 0x0
	s_waitcnt lgkmcnt(0)
	s_barrier
	buffer_gl0_inv
	v_mul_lo_u16 v0, v0, 57
	v_cmp_gt_u16_e64 s0, 63, v63
                                        ; implicit-def: $vgpr56
                                        ; implicit-def: $vgpr61
	s_delay_alu instid0(VALU_DEP_2) | instskip(NEXT) | instid1(VALU_DEP_1)
	v_lshrrev_b16 v26, 9, v0
	v_mul_lo_u16 v0, v26, 9
	s_delay_alu instid0(VALU_DEP_1) | instskip(NEXT) | instid1(VALU_DEP_1)
	v_sub_nc_u16 v0, v63, v0
	v_and_b32_e32 v28, 0xff, v0
	s_delay_alu instid0(VALU_DEP_1) | instskip(NEXT) | instid1(VALU_DEP_1)
	v_mul_u32_u24_e32 v0, 6, v28
	v_lshlrev_b32_e32 v0, 3, v0
	s_clause 0x2
	global_load_b128 v[8:11], v0, s[2:3]
	global_load_b128 v[4:7], v0, s[2:3] offset:16
	global_load_b128 v[0:3], v0, s[2:3] offset:32
	v_add_nc_u32_e32 v12, 0x400, v64
	ds_load_2addr_b64 v[14:17], v64 offset1:117
	v_add_nc_u32_e32 v13, 0xc00, v64
	ds_load_2addr_b64 v[18:21], v12 offset0:106 offset1:223
	ds_load_2addr_b64 v[22:25], v13 offset0:84 offset1:201
	v_and_b32_e32 v29, 0xffff, v26
	ds_load_b64 v[26:27], v64 offset:5616
	s_waitcnt vmcnt(0) lgkmcnt(0)
	s_barrier
	buffer_gl0_inv
	v_mul_f32_e32 v30, v19, v11
	v_mul_u32_u24_e32 v29, 63, v29
	v_dual_mul_f32 v31, v18, v11 :: v_dual_mul_f32 v32, v21, v5
	v_mul_f32_e32 v39, v26, v3
	v_mul_f32_e32 v33, v20, v5
	s_delay_alu instid0(VALU_DEP_4)
	v_add_lshl_u32 v66, v29, v28, 3
	v_mul_f32_e32 v28, v17, v9
	v_dual_mul_f32 v29, v16, v9 :: v_dual_mul_f32 v34, v23, v7
	v_mul_f32_e32 v37, v24, v1
	v_dual_mul_f32 v35, v22, v7 :: v_dual_mul_f32 v36, v25, v1
	v_fmac_f32_e32 v31, v19, v10
	s_delay_alu instid0(VALU_DEP_4)
	v_dual_mul_f32 v38, v27, v3 :: v_dual_fmac_f32 v29, v17, v8
	v_fma_f32 v16, v16, v8, -v28
	v_fma_f32 v17, v18, v10, -v30
	;; [unrolled: 1-line block ×4, first 2 shown]
	v_fmac_f32_e32 v33, v21, v4
	v_fma_f32 v20, v26, v2, -v38
	v_fmac_f32_e32 v39, v27, v2
	v_fmac_f32_e32 v35, v23, v6
	v_fma_f32 v21, v24, v0, -v36
	v_fmac_f32_e32 v37, v25, v0
	v_add_f32_e32 v22, v16, v20
	v_sub_f32_e32 v16, v16, v20
	v_add_f32_e32 v26, v18, v19
	v_sub_f32_e32 v18, v19, v18
	v_dual_sub_f32 v20, v29, v39 :: v_dual_add_f32 v25, v31, v37
	v_add_f32_e32 v27, v33, v35
	v_add_f32_e32 v24, v17, v21
	;; [unrolled: 1-line block ×3, first 2 shown]
	v_sub_f32_e32 v17, v17, v21
	v_sub_f32_e32 v21, v31, v37
	s_delay_alu instid0(VALU_DEP_4) | instskip(NEXT) | instid1(VALU_DEP_4)
	v_dual_sub_f32 v19, v35, v33 :: v_dual_add_f32 v28, v24, v22
	v_add_f32_e32 v29, v25, v23
	v_sub_f32_e32 v31, v25, v23
	v_dual_sub_f32 v23, v23, v27 :: v_dual_sub_f32 v30, v24, v22
	v_sub_f32_e32 v34, v18, v17
	v_sub_f32_e32 v22, v22, v26
	v_dual_sub_f32 v24, v26, v24 :: v_dual_sub_f32 v25, v27, v25
	v_add_f32_e32 v26, v26, v28
	v_add_f32_e32 v32, v18, v17
	s_delay_alu instid0(VALU_DEP_3) | instskip(SKIP_2) | instid1(VALU_DEP_4)
	v_dual_add_f32 v27, v27, v29 :: v_dual_mul_f32 v28, 0x3d64c772, v24
	v_dual_sub_f32 v18, v16, v18 :: v_dual_add_f32 v33, v19, v21
	v_sub_f32_e32 v17, v17, v16
	v_add_f32_e32 v16, v32, v16
	v_dual_mul_f32 v32, 0xbf08b237, v34 :: v_dual_sub_f32 v35, v19, v21
	v_dual_sub_f32 v19, v20, v19 :: v_dual_mul_f32 v22, 0x3f4a47b2, v22
	v_dual_mul_f32 v23, 0x3f4a47b2, v23 :: v_dual_add_f32 v36, v14, v26
	v_add_f32_e32 v37, v15, v27
	v_dual_sub_f32 v21, v21, v20 :: v_dual_mul_f32 v34, 0x3f5ff5aa, v17
	v_dual_add_f32 v20, v33, v20 :: v_dual_mul_f32 v29, 0x3d64c772, v25
	v_fmamk_f32 v14, v24, 0x3d64c772, v22
	v_fma_f32 v24, 0x3f3bfb3b, v30, -v28
	v_fmamk_f32 v28, v18, 0x3eae86e6, v32
	v_dual_fmamk_f32 v26, v26, 0xbf955555, v36 :: v_dual_fmamk_f32 v27, v27, 0xbf955555, v37
	v_mul_f32_e32 v33, 0xbf08b237, v35
	v_mul_f32_e32 v35, 0x3f5ff5aa, v21
	v_fma_f32 v17, 0x3f5ff5aa, v17, -v32
	v_fma_f32 v18, 0xbeae86e6, v18, -v34
	v_add_f32_e32 v14, v14, v26
	v_fma_f32 v21, 0x3f5ff5aa, v21, -v33
	v_fma_f32 v22, 0xbf3bfb3b, v30, -v22
	v_fmamk_f32 v15, v25, 0x3d64c772, v23
	v_fma_f32 v25, 0x3f3bfb3b, v31, -v29
	v_fma_f32 v23, 0xbf3bfb3b, v31, -v23
	v_fmac_f32_e32 v28, 0x3ee1c552, v16
	v_fmac_f32_e32 v17, 0x3ee1c552, v16
	;; [unrolled: 1-line block ×4, first 2 shown]
	v_dual_add_f32 v16, v24, v26 :: v_dual_fmamk_f32 v29, v19, 0x3eae86e6, v33
	v_fma_f32 v19, 0xbeae86e6, v19, -v35
	s_delay_alu instid0(VALU_DEP_2) | instskip(NEXT) | instid1(VALU_DEP_2)
	v_dual_sub_f32 v50, v16, v21 :: v_dual_fmac_f32 v29, 0x3ee1c552, v20
	v_dual_fmac_f32 v19, 0x3ee1c552, v20 :: v_dual_add_f32 v20, v22, v26
	v_add_f32_e32 v15, v15, v27
	v_add_f32_e32 v22, v23, v27
	s_delay_alu instid0(VALU_DEP_4) | instskip(NEXT) | instid1(VALU_DEP_3)
	v_dual_sub_f32 v44, v14, v29 :: v_dual_add_f32 v23, v25, v27
	v_dual_add_f32 v38, v29, v14 :: v_dual_sub_f32 v39, v15, v28
	s_delay_alu instid0(VALU_DEP_3) | instskip(NEXT) | instid1(VALU_DEP_3)
	v_dual_add_f32 v48, v19, v20 :: v_dual_sub_f32 v49, v22, v18
	v_add_f32_e32 v51, v17, v23
	v_dual_sub_f32 v53, v23, v17 :: v_dual_sub_f32 v54, v20, v19
	v_dual_add_f32 v52, v21, v16 :: v_dual_add_f32 v55, v18, v22
	v_add_f32_e32 v45, v28, v15
	ds_store_2addr_b64 v66, v[36:37], v[38:39] offset1:9
	ds_store_2addr_b64 v66, v[48:49], v[50:51] offset0:18 offset1:27
	ds_store_2addr_b64 v66, v[52:53], v[54:55] offset0:36 offset1:45
	ds_store_b64 v66, v[44:45] offset:432
	s_waitcnt lgkmcnt(0)
	s_barrier
	buffer_gl0_inv
	s_and_saveexec_b32 s1, s0
	s_cbranch_execz .LBB0_9
; %bb.8:
	v_add_nc_u32_e32 v14, 0x800, v64
	v_add_nc_u32_e32 v15, 0x1000, v64
	ds_load_2addr_b64 v[36:39], v64 offset1:63
	ds_load_2addr_b64 v[48:51], v64 offset0:126 offset1:189
	ds_load_2addr_b64 v[52:55], v12 offset0:124 offset1:187
	ds_load_2addr_b64 v[44:47], v14 offset0:122 offset1:185
	ds_load_2addr_b64 v[40:43], v13 offset0:120 offset1:183
	ds_load_2addr_b64 v[56:59], v15 offset0:118 offset1:181
	ds_load_b64 v[61:62], v64 offset:6048
.LBB0_9:
	s_or_b32 exec_lo, exec_lo, s1
	v_subrev_nc_u32_e32 v12, 63, v63
	s_delay_alu instid0(VALU_DEP_1) | instskip(NEXT) | instid1(VALU_DEP_1)
	v_cndmask_b32_e64 v12, v12, v63, s0
	v_mul_i32_i24_e32 v13, 0x60, v12
	v_mul_hi_i32_i24_e32 v12, 0x60, v12
	s_delay_alu instid0(VALU_DEP_2) | instskip(NEXT) | instid1(VALU_DEP_1)
	v_add_co_u32 v32, s1, s2, v13
	v_add_co_ci_u32_e64 v33, s1, s3, v12, s1
	s_clause 0x5
	global_load_b128 v[28:31], v[32:33], off offset:432
	global_load_b128 v[20:23], v[32:33], off offset:448
	;; [unrolled: 1-line block ×6, first 2 shown]
	s_waitcnt vmcnt(5) lgkmcnt(5)
	v_dual_mul_f32 v77, v39, v29 :: v_dual_mul_f32 v78, v48, v31
	v_dual_mul_f32 v80, v38, v29 :: v_dual_mul_f32 v79, v49, v31
	s_waitcnt vmcnt(4) lgkmcnt(4)
	v_dual_mul_f32 v81, v51, v21 :: v_dual_mul_f32 v82, v53, v23
	s_waitcnt vmcnt(0) lgkmcnt(0)
	v_dual_mul_f32 v89, v59, v33 :: v_dual_mul_f32 v90, v62, v35
	v_dual_mul_f32 v69, v58, v33 :: v_dual_mul_f32 v70, v61, v35
	;; [unrolled: 1-line block ×9, first 2 shown]
	v_fma_f32 v91, v38, v28, -v77
	v_dual_fmac_f32 v80, v39, v28 :: v_dual_fmac_f32 v75, v53, v22
	v_fma_f32 v79, v48, v30, -v79
	v_fma_f32 v39, v58, v32, -v89
	;; [unrolled: 1-line block ×3, first 2 shown]
	v_fmac_f32_e32 v70, v62, v34
	v_dual_fmac_f32 v78, v49, v30 :: v_dual_fmac_f32 v67, v43, v24
	v_fma_f32 v77, v50, v20, -v81
	v_dual_fmac_f32 v76, v51, v20 :: v_dual_fmac_f32 v73, v45, v18
	v_fma_f32 v50, v52, v22, -v82
	v_fma_f32 v49, v54, v16, -v83
	v_dual_fmac_f32 v74, v55, v16 :: v_dual_fmac_f32 v71, v41, v14
	v_fma_f32 v48, v44, v18, -v84
	v_dual_fmac_f32 v72, v47, v12 :: v_dual_add_f32 v51, v36, v91
	v_fma_f32 v44, v40, v14, -v86
	v_fma_f32 v41, v42, v24, -v87
	v_fma_f32 v40, v56, v26, -v88
	v_dual_fmac_f32 v68, v57, v26 :: v_dual_fmac_f32 v69, v59, v32
	v_sub_f32_e32 v53, v91, v38
	v_dual_add_f32 v47, v79, v39 :: v_dual_add_f32 v52, v37, v80
	v_add_f32_e32 v43, v80, v70
	v_dual_sub_f32 v54, v80, v70 :: v_dual_sub_f32 v55, v79, v39
	v_fma_f32 v45, v46, v12, -v85
	v_dual_add_f32 v42, v91, v38 :: v_dual_sub_f32 v59, v76, v68
	v_add_f32_e32 v46, v78, v69
	v_dual_sub_f32 v56, v78, v69 :: v_dual_add_f32 v57, v77, v40
	v_dual_sub_f32 v80, v77, v40 :: v_dual_sub_f32 v81, v75, v67
	v_dual_sub_f32 v83, v50, v41 :: v_dual_add_f32 v62, v75, v67
	v_dual_sub_f32 v84, v74, v71 :: v_dual_sub_f32 v85, v49, v44
	v_dual_sub_f32 v88, v73, v72 :: v_dual_add_f32 v51, v51, v79
	v_add_f32_e32 v52, v52, v78
	v_mul_f32_e32 v78, 0xbeedf032, v54
	v_dual_mul_f32 v95, 0xbf6f5d39, v54 :: v_dual_mul_f32 v96, 0xbf6f5d39, v53
	v_dual_add_f32 v86, v74, v71 :: v_dual_sub_f32 v89, v48, v45
	v_dual_add_f32 v90, v73, v72 :: v_dual_mul_f32 v79, 0xbeedf032, v53
	v_dual_mul_f32 v91, 0xbf52af12, v54 :: v_dual_mul_f32 v92, 0xbf52af12, v53
	v_dual_mul_f32 v93, 0xbf7e222b, v54 :: v_dual_mul_f32 v94, 0xbf7e222b, v53
	;; [unrolled: 1-line block ×4, first 2 shown]
	v_mul_f32_e32 v53, 0xbe750f2a, v53
	v_dual_mul_f32 v99, 0xbf52af12, v56 :: v_dual_mul_f32 v100, 0xbf52af12, v55
	v_dual_mul_f32 v101, 0xbf6f5d39, v56 :: v_dual_mul_f32 v102, 0xbf6f5d39, v55
	;; [unrolled: 1-line block ×18, first 2 shown]
	v_fmamk_f32 v147, v43, 0xbeb58ec6, v96
	v_fma_f32 v96, 0xbeb58ec6, v43, -v96
	v_add_f32_e32 v51, v51, v77
	v_fma_f32 v140, 0x3f62ad3f, v42, -v78
	v_fmamk_f32 v188, v86, 0xbeb58ec6, v85
	v_dual_mul_f32 v83, 0x3f52af12, v83 :: v_dual_add_f32 v58, v76, v68
	v_dual_add_f32 v61, v50, v41 :: v_dual_add_f32 v82, v49, v44
	v_dual_add_f32 v87, v48, v45 :: v_dual_mul_f32 v110, 0xbe750f2a, v59
	v_mul_f32_e32 v139, 0xbe750f2a, v88
	v_dual_mul_f32 v111, 0x3f6f5d39, v59 :: v_dual_mul_f32 v116, 0x3f6f5d39, v80
	v_dual_mul_f32 v112, 0x3eedf032, v59 :: v_dual_mul_f32 v117, 0x3eedf032, v80
	;; [unrolled: 1-line block ×4, first 2 shown]
	v_dual_mul_f32 v81, 0x3f52af12, v81 :: v_dual_add_f32 v52, v52, v76
	v_dual_fmamk_f32 v141, v43, 0x3f62ad3f, v79 :: v_dual_fmac_f32 v78, 0x3f62ad3f, v42
	v_fma_f32 v79, 0x3f62ad3f, v43, -v79
	v_fma_f32 v142, 0x3f116cb1, v42, -v91
	v_dual_fmamk_f32 v143, v43, 0x3f116cb1, v92 :: v_dual_fmamk_f32 v178, v62, 0x3f116cb1, v83
	v_fmac_f32_e32 v91, 0x3f116cb1, v42
	v_fma_f32 v92, 0x3f116cb1, v43, -v92
	v_fma_f32 v144, 0x3df6dbef, v42, -v93
	v_dual_fmamk_f32 v145, v43, 0x3df6dbef, v94 :: v_dual_fmamk_f32 v176, v62, 0x3df6dbef, v127
	v_fmac_f32_e32 v93, 0x3df6dbef, v42
	v_fma_f32 v94, 0x3df6dbef, v43, -v94
	v_fma_f32 v146, 0xbeb58ec6, v42, -v95
	v_fmac_f32_e32 v95, 0xbeb58ec6, v42
	v_fma_f32 v148, 0xbf3f9e67, v42, -v97
	v_dual_fmamk_f32 v149, v43, 0xbf3f9e67, v98 :: v_dual_fmamk_f32 v174, v62, 0xbf3f9e67, v125
	v_dual_fmac_f32 v97, 0xbf3f9e67, v42 :: v_dual_fmamk_f32 v158, v46, 0xbf3f9e67, v106
	v_fma_f32 v98, 0xbf3f9e67, v43, -v98
	v_fma_f32 v150, 0xbf788fa5, v42, -v54
	v_dual_fmamk_f32 v151, v43, 0xbf788fa5, v53 :: v_dual_fmac_f32 v54, 0xbf788fa5, v42
	v_fma_f32 v42, 0xbf788fa5, v43, -v53
	v_fma_f32 v43, 0x3f116cb1, v47, -v99
	v_dual_fmamk_f32 v53, v46, 0x3f116cb1, v100 :: v_dual_add_f32 v78, v36, v78
	v_dual_fmac_f32 v99, 0x3f116cb1, v47 :: v_dual_add_f32 v92, v37, v92
	v_fma_f32 v100, 0x3f116cb1, v46, -v100
	v_fma_f32 v152, 0xbeb58ec6, v47, -v101
	v_fmac_f32_e32 v101, 0xbeb58ec6, v47
	v_fma_f32 v153, 0xbf788fa5, v47, -v103
	v_fmac_f32_e32 v103, 0xbf788fa5, v47
	v_fma_f32 v154, 0xbf3f9e67, v47, -v105
	v_dual_fmac_f32 v105, 0xbf3f9e67, v47 :: v_dual_fmamk_f32 v168, v58, 0xbf3f9e67, v80
	v_fma_f32 v155, 0x3df6dbef, v47, -v107
	v_fmac_f32_e32 v107, 0x3df6dbef, v47
	v_fma_f32 v156, 0x3f62ad3f, v47, -v56
	v_fmac_f32_e32 v56, 0x3f62ad3f, v47
	v_fmamk_f32 v47, v46, 0xbeb58ec6, v102
	v_fma_f32 v102, 0xbeb58ec6, v46, -v102
	v_dual_fmamk_f32 v157, v46, 0xbf788fa5, v104 :: v_dual_add_f32 v94, v37, v94
	v_fma_f32 v104, 0xbf788fa5, v46, -v104
	v_fma_f32 v106, 0xbf3f9e67, v46, -v106
	v_fmamk_f32 v159, v46, 0x3df6dbef, v108
	v_fma_f32 v108, 0x3df6dbef, v46, -v108
	v_dual_fmamk_f32 v160, v46, 0x3f62ad3f, v55 :: v_dual_add_f32 v79, v37, v79
	v_fma_f32 v46, 0x3f62ad3f, v46, -v55
	v_fma_f32 v55, 0x3df6dbef, v57, -v109
	v_dual_fmac_f32 v109, 0x3df6dbef, v57 :: v_dual_add_f32 v96, v37, v96
	v_fma_f32 v161, 0xbf788fa5, v57, -v110
	v_fmac_f32_e32 v110, 0xbf788fa5, v57
	v_fma_f32 v162, 0xbeb58ec6, v57, -v111
	v_dual_fmac_f32 v111, 0xbeb58ec6, v57 :: v_dual_add_f32 v98, v37, v98
	v_fma_f32 v163, 0x3f62ad3f, v57, -v112
	v_fmac_f32_e32 v112, 0x3f62ad3f, v57
	v_fma_f32 v164, 0x3f116cb1, v57, -v113
	v_fmac_f32_e32 v113, 0x3f116cb1, v57
	;; [unrolled: 2-line block ×3, first 2 shown]
	v_fmamk_f32 v57, v58, 0x3df6dbef, v114
	v_fma_f32 v76, 0x3df6dbef, v58, -v114
	v_fmamk_f32 v77, v58, 0xbf788fa5, v115
	v_fma_f32 v114, 0xbf788fa5, v58, -v115
	;; [unrolled: 2-line block ×5, first 2 shown]
	v_fma_f32 v58, 0xbf3f9e67, v58, -v80
	v_fma_f32 v80, 0xbeb58ec6, v61, -v119
	v_fmac_f32_e32 v119, 0xbeb58ec6, v61
	v_fma_f32 v169, 0xbf3f9e67, v61, -v120
	v_fmac_f32_e32 v120, 0xbf3f9e67, v61
	;; [unrolled: 2-line block ×6, first 2 shown]
	v_fmamk_f32 v61, v62, 0xbeb58ec6, v124
	v_fma_f32 v124, 0xbeb58ec6, v62, -v124
	v_fma_f32 v125, 0xbf3f9e67, v62, -v125
	v_fmamk_f32 v175, v62, 0x3f62ad3f, v126
	v_fma_f32 v126, 0x3f62ad3f, v62, -v126
	v_fma_f32 v127, 0x3df6dbef, v62, -v127
	;; [unrolled: 3-line block ×3, first 2 shown]
	v_fma_f32 v83, 0xbf3f9e67, v82, -v129
	v_fmac_f32_e32 v129, 0xbf3f9e67, v82
	v_fma_f32 v179, 0x3df6dbef, v82, -v130
	v_fmac_f32_e32 v130, 0x3df6dbef, v82
	v_fma_f32 v180, 0x3f116cb1, v82, -v131
	v_dual_fmac_f32 v131, 0x3f116cb1, v82 :: v_dual_add_f32 v96, v106, v96
	v_fma_f32 v181, 0xbf788fa5, v82, -v132
	v_fmac_f32_e32 v132, 0xbf788fa5, v82
	v_fma_f32 v182, 0x3f62ad3f, v82, -v133
	v_fmac_f32_e32 v133, 0x3f62ad3f, v82
	;; [unrolled: 2-line block ×3, first 2 shown]
	v_fmamk_f32 v82, v86, 0xbf3f9e67, v134
	v_fma_f32 v134, 0xbf3f9e67, v86, -v134
	v_fmamk_f32 v184, v86, 0x3df6dbef, v135
	v_fma_f32 v135, 0x3df6dbef, v86, -v135
	;; [unrolled: 2-line block ×4, first 2 shown]
	v_dual_fmamk_f32 v187, v86, 0x3f62ad3f, v138 :: v_dual_add_f32 v98, v108, v98
	v_fma_f32 v138, 0x3f62ad3f, v86, -v138
	v_fma_f32 v85, 0xbeb58ec6, v86, -v85
	v_add_f32_e32 v86, v36, v140
	v_dual_add_f32 v140, v37, v141 :: v_dual_add_f32 v141, v36, v142
	v_dual_add_f32 v142, v37, v143 :: v_dual_add_f32 v143, v36, v144
	;; [unrolled: 1-line block ×5, first 2 shown]
	v_add_f32_e32 v150, v37, v151
	v_add_f32_e32 v37, v37, v42
	v_dual_add_f32 v42, v51, v50 :: v_dual_add_f32 v91, v36, v91
	v_add_f32_e32 v93, v36, v93
	v_add_f32_e32 v50, v52, v75
	v_dual_add_f32 v95, v36, v95 :: v_dual_add_f32 v52, v99, v78
	;; [unrolled: 3-line block ×3, first 2 shown]
	v_dual_add_f32 v54, v152, v141 :: v_dual_add_f32 v47, v47, v142
	v_add_f32_e32 v78, v102, v92
	s_delay_alu instid0(VALU_DEP_3)
	v_dual_add_f32 v42, v42, v48 :: v_dual_add_f32 v53, v100, v79
	v_add_f32_e32 v92, v104, v94
	v_add_f32_e32 v43, v43, v86
	;; [unrolled: 1-line block ×3, first 2 shown]
	v_dual_add_f32 v36, v56, v36 :: v_dual_add_f32 v37, v46, v37
	v_add_f32_e32 v46, v50, v74
	v_add_f32_e32 v86, v157, v144
	v_dual_add_f32 v75, v101, v91 :: v_dual_add_f32 v94, v158, v146
	v_add_f32_e32 v79, v153, v143
	v_add_f32_e32 v91, v103, v93
	v_dual_add_f32 v95, v105, v95 :: v_dual_add_f32 v48, v168, v102
	v_dual_add_f32 v100, v159, v148 :: v_dual_add_f32 v93, v154, v145
	v_add_f32_e32 v49, v57, v51
	v_add_f32_e32 v50, v109, v52
	v_dual_add_f32 v52, v161, v54 :: v_dual_add_f32 v99, v155, v147
	v_add_f32_e32 v46, v46, v73
	v_dual_add_f32 v54, v114, v78 :: v_dual_add_f32 v51, v76, v53
	v_dual_add_f32 v97, v107, v97 :: v_dual_add_f32 v74, v116, v92
	;; [unrolled: 1-line block ×5, first 2 shown]
	v_add_f32_e32 v46, v46, v72
	v_add_f32_e32 v56, v115, v86
	;; [unrolled: 1-line block ×4, first 2 shown]
	v_dual_add_f32 v92, v118, v98 :: v_dual_add_f32 v57, v111, v91
	v_add_f32_e32 v48, v178, v48
	v_add_f32_e32 v53, v110, v75
	;; [unrolled: 1-line block ×4, first 2 shown]
	v_dual_add_f32 v49, v119, v50 :: v_dual_add_f32 v50, v124, v51
	v_add_f32_e32 v91, v113, v97
	v_add_f32_e32 v93, v165, v101
	;; [unrolled: 1-line block ×3, first 2 shown]
	v_dual_add_f32 v79, v164, v99 :: v_dual_add_f32 v42, v42, v44
	v_dual_add_f32 v44, v46, v71 :: v_dual_add_f32 v51, v169, v52
	;; [unrolled: 1-line block ×3, first 2 shown]
	s_delay_alu instid0(VALU_DEP_3)
	v_add_f32_e32 v41, v42, v41
	v_add_f32_e32 v73, v127, v78
	v_dual_add_f32 v59, v176, v76 :: v_dual_add_f32 v76, v123, v91
	v_add_f32_e32 v78, v173, v93
	v_dual_add_f32 v54, v170, v55 :: v_dual_add_f32 v55, v175, v56
	v_dual_add_f32 v56, v121, v57 :: v_dual_add_f32 v57, v126, v74
	v_add_f32_e32 v40, v41, v40
	v_add_f32_e32 v42, v44, v67
	v_dual_add_f32 v77, v112, v95 :: v_dual_add_f32 v36, v81, v36
	v_dual_add_f32 v37, v58, v37 :: v_dual_add_f32 v54, v180, v54
	s_delay_alu instid0(VALU_DEP_3) | instskip(SKIP_1) | instid1(VALU_DEP_4)
	v_add_f32_e32 v41, v42, v68
	v_add_f32_e32 v39, v40, v39
	v_dual_add_f32 v61, v122, v77 :: v_dual_add_f32 v74, v172, v79
	v_dual_add_f32 v58, v171, v75 :: v_dual_add_f32 v75, v177, v86
	s_delay_alu instid0(VALU_DEP_3)
	v_dual_add_f32 v77, v128, v92 :: v_dual_add_f32 v44, v39, v38
	v_add_f32_e32 v37, v62, v37
	v_dual_add_f32 v50, v134, v50 :: v_dual_add_f32 v43, v80, v43
	v_add_f32_e32 v62, v82, v45
	v_add_f32_e32 v40, v41, v69
	v_mul_f32_e32 v39, 0xbe750f2a, v89
	v_dual_add_f32 v47, v174, v47 :: v_dual_add_f32 v56, v131, v56
	v_dual_add_f32 v51, v179, v51 :: v_dual_add_f32 v58, v181, v58
	;; [unrolled: 1-line block ×4, first 2 shown]
	v_add_f32_e32 v45, v40, v70
	v_fma_f32 v38, 0xbf788fa5, v87, -v139
	v_add_f32_e32 v70, v188, v48
	v_dual_add_f32 v74, v187, v75 :: v_dual_add_f32 v75, v138, v77
	v_dual_add_f32 v77, v84, v36 :: v_dual_fmamk_f32 v36, v90, 0xbf788fa5, v39
	v_dual_mul_f32 v40, 0xbf29c268, v88 :: v_dual_add_f32 v43, v83, v43
	v_dual_add_f32 v78, v85, v37 :: v_dual_mul_f32 v37, 0x3eedf032, v88
	v_dual_add_f32 v72, v130, v52 :: v_dual_add_f32 v49, v129, v49
	s_delay_alu instid0(VALU_DEP_3)
	v_add_f32_e32 v46, v38, v43
	v_fma_f32 v38, 0xbf788fa5, v90, -v39
	v_add_f32_e32 v71, v184, v47
	v_mul_f32_e32 v39, 0x3eedf032, v89
	v_add_f32_e32 v47, v36, v62
	v_fma_f32 v36, 0x3f62ad3f, v87, -v37
	v_dual_add_f32 v79, v135, v53 :: v_dual_add_f32 v62, v38, v50
	s_delay_alu instid0(VALU_DEP_4) | instskip(NEXT) | instid1(VALU_DEP_3)
	v_dual_fmamk_f32 v38, v90, 0x3f62ad3f, v39 :: v_dual_add_f32 v55, v185, v55
	v_add_f32_e32 v52, v36, v51
	v_fma_f32 v36, 0x3f62ad3f, v90, -v39
	v_fmac_f32_e32 v37, 0x3f62ad3f, v87
	s_delay_alu instid0(VALU_DEP_4) | instskip(SKIP_4) | instid1(VALU_DEP_4)
	v_add_f32_e32 v53, v38, v71
	v_fma_f32 v38, 0xbf3f9e67, v87, -v40
	v_mul_f32_e32 v39, 0xbf29c268, v89
	v_dual_add_f32 v43, v36, v79 :: v_dual_mul_f32 v36, 0x3f52af12, v88
	v_dual_add_f32 v57, v136, v57 :: v_dual_add_f32 v42, v37, v72
	v_dual_add_f32 v67, v132, v61 :: v_dual_add_f32 v54, v38, v54
	v_fmac_f32_e32 v139, 0xbf788fa5, v87
	v_fmamk_f32 v37, v90, 0xbf3f9e67, v39
	v_fma_f32 v38, 0xbf3f9e67, v90, -v39
	v_fma_f32 v39, 0x3f116cb1, v87, -v36
	v_fmac_f32_e32 v40, 0xbf3f9e67, v87
	v_add_f32_e32 v59, v186, v59
	v_add_f32_e32 v55, v37, v55
	s_delay_alu instid0(VALU_DEP_4) | instskip(NEXT) | instid1(VALU_DEP_4)
	v_dual_add_f32 v41, v38, v57 :: v_dual_add_f32 v48, v39, v58
	v_add_f32_e32 v40, v40, v56
	v_dual_mul_f32 v58, 0x3f7e222b, v88 :: v_dual_add_f32 v61, v139, v49
	v_mul_f32_e32 v49, 0x3f52af12, v89
	v_mul_f32_e32 v56, 0xbf6f5d39, v88
	v_fmac_f32_e32 v36, 0x3f116cb1, v87
	v_mul_f32_e32 v57, 0xbf6f5d39, v89
	s_delay_alu instid0(VALU_DEP_4) | instskip(SKIP_1) | instid1(VALU_DEP_4)
	v_fmamk_f32 v37, v90, 0x3f116cb1, v49
	v_fma_f32 v39, 0x3f116cb1, v90, -v49
	v_add_f32_e32 v38, v36, v67
	s_delay_alu instid0(VALU_DEP_3) | instskip(SKIP_1) | instid1(VALU_DEP_2)
	v_dual_fmamk_f32 v36, v90, 0xbeb58ec6, v57 :: v_dual_add_f32 v49, v37, v59
	v_fma_f32 v37, 0xbeb58ec6, v87, -v56
	v_dual_fmac_f32 v56, 0xbeb58ec6, v87 :: v_dual_add_f32 v51, v36, v74
	s_delay_alu instid0(VALU_DEP_2) | instskip(SKIP_1) | instid1(VALU_DEP_3)
	v_dual_add_f32 v39, v39, v68 :: v_dual_add_f32 v50, v37, v73
	v_mul_f32_e32 v37, 0x3f7e222b, v89
	v_add_f32_e32 v36, v56, v69
	v_fma_f32 v56, 0xbeb58ec6, v90, -v57
	v_fma_f32 v57, 0x3df6dbef, v87, -v58
	s_delay_alu instid0(VALU_DEP_4) | instskip(SKIP_1) | instid1(VALU_DEP_3)
	v_dual_fmac_f32 v58, 0x3df6dbef, v87 :: v_dual_fmamk_f32 v59, v90, 0x3df6dbef, v37
	v_fma_f32 v67, 0x3df6dbef, v90, -v37
	v_dual_add_f32 v37, v56, v75 :: v_dual_add_f32 v56, v57, v76
	s_delay_alu instid0(VALU_DEP_3) | instskip(NEXT) | instid1(VALU_DEP_3)
	v_dual_add_f32 v58, v58, v77 :: v_dual_add_f32 v57, v59, v70
	v_add_f32_e32 v59, v67, v78
	s_and_saveexec_b32 s1, s0
	s_cbranch_execz .LBB0_11
; %bb.10:
	v_add_nc_u32_e32 v67, 0x400, v64
	v_add_nc_u32_e32 v68, 0x800, v64
	;; [unrolled: 1-line block ×4, first 2 shown]
	ds_store_2addr_b64 v64, v[44:45], v[46:47] offset1:63
	ds_store_2addr_b64 v64, v[52:53], v[54:55] offset0:126 offset1:189
	ds_store_2addr_b64 v67, v[48:49], v[50:51] offset0:124 offset1:187
	;; [unrolled: 1-line block ×5, first 2 shown]
	ds_store_b64 v64, v[61:62] offset:6048
.LBB0_11:
	s_or_b32 exec_lo, exec_lo, s1
	s_waitcnt lgkmcnt(0)
	s_barrier
	buffer_gl0_inv
	s_and_saveexec_b32 s2, vcc_lo
	s_cbranch_execz .LBB0_13
; %bb.12:
	v_add_co_u32 v73, s1, s14, v64
	s_delay_alu instid0(VALU_DEP_1) | instskip(SKIP_1) | instid1(VALU_DEP_3)
	v_add_co_ci_u32_e64 v74, null, s15, 0, s1
	v_add_nc_u32_e32 v102, 0x1000, v64
	v_add_co_u32 v67, s1, 0x1000, v73
	s_delay_alu instid0(VALU_DEP_1) | instskip(SKIP_1) | instid1(VALU_DEP_1)
	v_add_co_ci_u32_e64 v68, s1, 0, v74, s1
	v_add_co_u32 v69, s1, 0x1998, v73
	v_add_co_ci_u32_e64 v70, s1, 0, v74, s1
	global_load_b64 v[67:68], v[67:68], off offset:2456
	v_add_co_u32 v71, s1, 0x2000, v73
	s_delay_alu instid0(VALU_DEP_1)
	v_add_co_ci_u32_e64 v72, s1, 0, v74, s1
	s_clause 0x6
	global_load_b64 v[83:84], v[69:70], off offset:728
	global_load_b64 v[85:86], v[69:70], off offset:1456
	;; [unrolled: 1-line block ×7, first 2 shown]
	v_add_co_u32 v69, s1, 0x3000, v73
	s_delay_alu instid0(VALU_DEP_1)
	v_add_co_ci_u32_e64 v70, s1, 0, v74, s1
	v_add_nc_u32_e32 v101, 0xc00, v64
	global_load_b64 v[97:98], v[69:70], off offset:88
	ds_load_b64 v[69:70], v64
	s_waitcnt vmcnt(8) lgkmcnt(0)
	v_mul_f32_e32 v71, v70, v68
	v_mul_f32_e32 v72, v69, v68
	s_delay_alu instid0(VALU_DEP_2) | instskip(NEXT) | instid1(VALU_DEP_2)
	v_fma_f32 v71, v69, v67, -v71
	v_fmac_f32_e32 v72, v70, v67
	ds_store_b64 v64, v[71:72]
	ds_load_2addr_b64 v[67:70], v64 offset0:91 offset1:182
	s_waitcnt vmcnt(7) lgkmcnt(0)
	v_mul_f32_e32 v99, v67, v84
	v_add_nc_u32_e32 v100, 0x800, v64
	s_waitcnt vmcnt(6)
	v_dual_mul_f32 v103, v68, v84 :: v_dual_mul_f32 v104, v70, v86
	s_delay_alu instid0(VALU_DEP_3)
	v_dual_mul_f32 v84, v69, v86 :: v_dual_fmac_f32 v99, v68, v83
	ds_load_2addr_b64 v[71:74], v100 offset0:17 offset1:108
	ds_load_2addr_b64 v[75:78], v101 offset0:71 offset1:162
	;; [unrolled: 1-line block ×3, first 2 shown]
	s_waitcnt vmcnt(1) lgkmcnt(1)
	v_dual_fmac_f32 v84, v70, v85 :: v_dual_mul_f32 v107, v76, v96
	v_mul_f32_e32 v105, v72, v88
	v_mul_f32_e32 v86, v71, v88
	;; [unrolled: 1-line block ×6, first 2 shown]
	s_waitcnt lgkmcnt(0)
	v_dual_mul_f32 v96, v77, v92 :: v_dual_mul_f32 v109, v80, v94
	v_mul_f32_e32 v92, v79, v94
	s_waitcnt vmcnt(0)
	v_mul_f32_e32 v110, v82, v98
	v_mul_f32_e32 v94, v81, v98
	v_fma_f32 v98, v67, v83, -v103
	v_fma_f32 v83, v69, v85, -v104
	v_fma_f32 v85, v71, v87, -v105
	v_fmac_f32_e32 v86, v72, v87
	v_fma_f32 v87, v73, v89, -v106
	v_fmac_f32_e32 v88, v74, v89
	v_fma_f32 v89, v75, v95, -v107
	;; [unrolled: 2-line block ×5, first 2 shown]
	v_fmac_f32_e32 v94, v82, v97
	ds_store_2addr_b64 v64, v[98:99], v[83:84] offset0:91 offset1:182
	ds_store_2addr_b64 v100, v[85:86], v[87:88] offset0:17 offset1:108
	;; [unrolled: 1-line block ×4, first 2 shown]
.LBB0_13:
	s_or_b32 exec_lo, exec_lo, s2
	s_waitcnt lgkmcnt(0)
	s_barrier
	buffer_gl0_inv
	s_and_saveexec_b32 s1, vcc_lo
	s_cbranch_execz .LBB0_15
; %bb.14:
	v_add_nc_u32_e32 v36, 0x400, v64
	v_add_nc_u32_e32 v37, 0x800, v64
	;; [unrolled: 1-line block ×3, first 2 shown]
	ds_load_2addr_b64 v[44:47], v64 offset1:91
	ds_load_2addr_b64 v[52:55], v36 offset0:54 offset1:145
	ds_load_2addr_b64 v[48:51], v37 offset0:108 offset1:199
	;; [unrolled: 1-line block ×3, first 2 shown]
	ds_load_b64 v[36:37], v64 offset:5824
.LBB0_15:
	s_or_b32 exec_lo, exec_lo, s1
	s_waitcnt lgkmcnt(0)
	v_dual_sub_f32 v70, v46, v36 :: v_dual_sub_f32 v69, v47, v37
	v_add_f32_e32 v71, v36, v46
	v_dual_sub_f32 v68, v52, v58 :: v_dual_sub_f32 v67, v53, v59
	v_dual_add_f32 v72, v37, v47 :: v_dual_add_f32 v73, v58, v52
	s_delay_alu instid0(VALU_DEP_4) | instskip(SKIP_3) | instid1(VALU_DEP_4)
	v_mul_f32_e32 v36, 0x3f248dbb, v69
	v_sub_f32_e32 v78, v54, v56
	v_dual_add_f32 v56, v56, v54 :: v_dual_fmamk_f32 v37, v71, 0x3f441b7d, v44
	v_sub_f32_e32 v58, v49, v51
	v_dual_fmac_f32 v36, 0x3f7c1c5c, v67 :: v_dual_add_f32 v75, v51, v49
	v_dual_mul_f32 v46, 0x3f248dbb, v70 :: v_dual_sub_f32 v77, v55, v57
	s_delay_alu instid0(VALU_DEP_4) | instskip(SKIP_2) | instid1(VALU_DEP_3)
	v_dual_fmac_f32 v37, 0x3e31d0d4, v73 :: v_dual_add_f32 v74, v50, v48
	v_dual_add_f32 v76, v59, v53 :: v_dual_fmamk_f32 v47, v72, 0x3f441b7d, v45
	v_mul_f32_e32 v53, 0x3f248dbb, v58
	v_dual_fmamk_f32 v80, v75, 0x3f441b7d, v45 :: v_dual_fmamk_f32 v79, v74, 0x3f441b7d, v44
	v_dual_fmac_f32 v46, 0x3f7c1c5c, v68 :: v_dual_add_f32 v57, v57, v55
	s_delay_alu instid0(VALU_DEP_2) | instskip(NEXT) | instid1(VALU_DEP_3)
	v_dual_sub_f32 v59, v48, v50 :: v_dual_fmac_f32 v80, 0x3e31d0d4, v72
	v_fmac_f32_e32 v79, 0x3e31d0d4, v71
	s_delay_alu instid0(VALU_DEP_3) | instskip(NEXT) | instid1(VALU_DEP_3)
	v_dual_fmac_f32 v46, 0x3f5db3d7, v78 :: v_dual_fmac_f32 v37, -0.5, v56
	v_dual_fmac_f32 v47, 0x3e31d0d4, v76 :: v_dual_fmac_f32 v80, -0.5, v57
	v_fma_f32 v82, 0x3f7c1c5c, v69, -v53
	s_delay_alu instid0(VALU_DEP_4) | instskip(NEXT) | instid1(VALU_DEP_3)
	v_dual_fmac_f32 v36, 0x3f5db3d7, v77 :: v_dual_fmac_f32 v79, -0.5, v56
	v_dual_fmac_f32 v37, 0xbf708fb2, v74 :: v_dual_fmac_f32 v80, 0xbf708fb2, v76
	v_mul_f32_e32 v52, 0x3f248dbb, v59
	v_dual_fmac_f32 v46, 0x3eaf1d44, v59 :: v_dual_fmac_f32 v47, -0.5, v57
	v_fmac_f32_e32 v82, 0xbf5db3d7, v77
	v_fmac_f32_e32 v79, 0xbf708fb2, v73
	s_delay_alu instid0(VALU_DEP_4) | instskip(SKIP_1) | instid1(VALU_DEP_3)
	v_fma_f32 v81, 0x3f7c1c5c, v70, -v52
	s_barrier
	v_fmac_f32_e32 v82, 0x3eaf1d44, v67
	buffer_gl0_inv
	v_fmac_f32_e32 v81, 0xbf5db3d7, v78
	v_fmac_f32_e32 v36, 0x3eaf1d44, v58
	s_delay_alu instid0(VALU_DEP_2) | instskip(NEXT) | instid1(VALU_DEP_2)
	v_dual_sub_f32 v52, v79, v82 :: v_dual_fmac_f32 v81, 0x3eaf1d44, v68
	v_dual_fmac_f32 v47, 0xbf708fb2, v75 :: v_dual_sub_f32 v54, v37, v36
	s_delay_alu instid0(VALU_DEP_2) | instskip(NEXT) | instid1(VALU_DEP_2)
	v_add_f32_e32 v53, v81, v80
	v_add_f32_e32 v55, v46, v47
	s_delay_alu instid0(VALU_DEP_3) | instskip(NEXT) | instid1(VALU_DEP_3)
	v_fma_f32 v36, 2.0, v36, v54
	v_fma_f32 v47, -2.0, v81, v53
	s_delay_alu instid0(VALU_DEP_3)
	v_fma_f32 v37, -2.0, v46, v55
	v_fma_f32 v46, 2.0, v82, v52
	s_and_saveexec_b32 s1, vcc_lo
	s_cbranch_execz .LBB0_17
; %bb.16:
	v_dual_mul_f32 v79, 0x3f7c1c5c, v59 :: v_dual_mul_f32 v82, 0.5, v57
	v_dual_fmamk_f32 v80, v76, 0x3f441b7d, v45 :: v_dual_mul_f32 v81, 0.5, v56
	v_dual_mul_f32 v78, 0x3f5db3d7, v78 :: v_dual_mul_f32 v77, 0x3f5db3d7, v77
	s_delay_alu instid0(VALU_DEP_3) | instskip(NEXT) | instid1(VALU_DEP_3)
	v_fma_f32 v79, 0xbf248dbb, v68, -v79
	v_fmac_f32_e32 v80, 0x3e31d0d4, v75
	v_dual_mul_f32 v83, 0x3f7c1c5c, v58 :: v_dual_add_f32 v76, v76, v72
	v_fmamk_f32 v84, v73, 0x3f441b7d, v44
	s_delay_alu instid0(VALU_DEP_3) | instskip(NEXT) | instid1(VALU_DEP_3)
	v_dual_add_f32 v78, v78, v79 :: v_dual_sub_f32 v79, v80, v82
	v_fma_f32 v80, 0xbf248dbb, v67, -v83
	v_and_b32_e32 v65, 0xffff, v65
	s_delay_alu instid0(VALU_DEP_4) | instskip(NEXT) | instid1(VALU_DEP_4)
	v_dual_fmac_f32 v84, 0x3e31d0d4, v74 :: v_dual_add_f32 v73, v73, v71
	v_fmac_f32_e32 v79, 0xbf708fb2, v72
	s_delay_alu instid0(VALU_DEP_4) | instskip(SKIP_3) | instid1(VALU_DEP_4)
	v_add_f32_e32 v77, v77, v80
	v_add_f32_e32 v82, v57, v76
	v_dual_fmac_f32 v78, 0x3eaf1d44, v70 :: v_dual_add_f32 v57, v57, v45
	v_lshlrev_b32_e32 v65, 3, v65
	v_fmac_f32_e32 v77, 0x3eaf1d44, v69
	s_delay_alu instid0(VALU_DEP_3) | instskip(SKIP_2) | instid1(VALU_DEP_3)
	v_dual_add_f32 v49, v49, v82 :: v_dual_add_f32 v72, v78, v79
	v_add_f32_e32 v79, v56, v73
	v_add_f32_e32 v58, v58, v69
	v_dual_add_f32 v56, v56, v44 :: v_dual_add_f32 v51, v51, v49
	v_sub_f32_e32 v80, v84, v81
	v_fma_f32 v49, -2.0, v78, v72
	v_dual_add_f32 v48, v48, v79 :: v_dual_add_f32 v59, v59, v70
	s_delay_alu instid0(VALU_DEP_4) | instskip(NEXT) | instid1(VALU_DEP_4)
	v_add_f32_e32 v51, v45, v51
	v_dual_fmac_f32 v80, 0xbf708fb2, v71 :: v_dual_add_f32 v45, v75, v76
	s_delay_alu instid0(VALU_DEP_3) | instskip(NEXT) | instid1(VALU_DEP_4)
	v_add_f32_e32 v48, v50, v48
	v_sub_f32_e32 v59, v59, v68
	v_add_f32_e32 v69, v74, v73
	s_delay_alu instid0(VALU_DEP_4) | instskip(NEXT) | instid1(VALU_DEP_4)
	v_sub_f32_e32 v71, v80, v77
	v_dual_fmac_f32 v57, -0.5, v45 :: v_dual_add_f32 v50, v44, v48
	v_sub_f32_e32 v45, v58, v67
	v_mul_f32_e32 v58, 0x3f5db3d7, v59
	s_delay_alu instid0(VALU_DEP_3) | instskip(SKIP_1) | instid1(VALU_DEP_4)
	v_dual_fmac_f32 v56, -0.5, v69 :: v_dual_fmac_f32 v57, 0x3f5db3d7, v59
	v_fma_f32 v48, 2.0, v77, v71
	v_mul_f32_e32 v59, 0x3f5db3d7, v45
	s_delay_alu instid0(VALU_DEP_3) | instskip(NEXT) | instid1(VALU_DEP_4)
	v_fmac_f32_e32 v56, 0xbf5db3d7, v45
	v_fma_f32 v45, -2.0, v58, v57
	s_delay_alu instid0(VALU_DEP_2)
	v_fma_f32 v44, 2.0, v59, v56
	ds_store_2addr_b64 v65, v[50:51], v[54:55] offset1:1
	ds_store_2addr_b64 v65, v[52:53], v[56:57] offset0:2 offset1:3
	ds_store_2addr_b64 v65, v[71:72], v[48:49] offset0:4 offset1:5
	;; [unrolled: 1-line block ×3, first 2 shown]
	ds_store_b64 v65, v[36:37] offset:64
.LBB0_17:
	s_or_b32 exec_lo, exec_lo, s1
	s_waitcnt lgkmcnt(0)
	s_barrier
	buffer_gl0_inv
	ds_load_2addr_b64 v[50:53], v64 offset1:117
	ds_load_b64 v[44:45], v64 offset:5616
	v_add_nc_u32_e32 v48, 0x400, v64
	s_waitcnt lgkmcnt(1)
	v_dual_mul_f32 v58, v9, v53 :: v_dual_add_nc_u32 v49, 0xc00, v64
	s_waitcnt lgkmcnt(0)
	v_mul_f32_e32 v59, v3, v45
	ds_load_2addr_b64 v[54:57], v48 offset0:106 offset1:223
	ds_load_2addr_b64 v[67:70], v49 offset0:84 offset1:201
	v_mul_f32_e32 v3, v3, v44
	s_waitcnt lgkmcnt(0)
	v_fmac_f32_e32 v58, v8, v52
	v_fmac_f32_e32 v59, v2, v44
	s_barrier
	v_fma_f32 v2, v2, v45, -v3
	v_mul_f32_e32 v9, v9, v52
	buffer_gl0_inv
	v_fma_f32 v8, v8, v53, -v9
	v_dual_mul_f32 v9, v11, v55 :: v_dual_mul_f32 v52, v5, v57
	v_mul_f32_e32 v11, v11, v54
	v_mul_f32_e32 v5, v5, v56
	s_delay_alu instid0(VALU_DEP_3) | instskip(NEXT) | instid1(VALU_DEP_3)
	v_fmac_f32_e32 v52, v4, v56
	v_fma_f32 v3, v10, v55, -v11
	v_mul_f32_e32 v65, v1, v70
	s_delay_alu instid0(VALU_DEP_4) | instskip(SKIP_2) | instid1(VALU_DEP_4)
	v_fma_f32 v4, v4, v57, -v5
	v_fmac_f32_e32 v9, v10, v54
	v_mul_f32_e32 v1, v1, v69
	v_fmac_f32_e32 v65, v0, v69
	v_mul_f32_e32 v53, v7, v68
	s_delay_alu instid0(VALU_DEP_3) | instskip(NEXT) | instid1(VALU_DEP_2)
	v_fma_f32 v0, v0, v70, -v1
	v_fmac_f32_e32 v53, v6, v67
	v_mul_f32_e32 v7, v7, v67
	s_delay_alu instid0(VALU_DEP_3) | instskip(SKIP_1) | instid1(VALU_DEP_4)
	v_add_f32_e32 v10, v3, v0
	v_sub_f32_e32 v0, v3, v0
	v_sub_f32_e32 v44, v53, v52
	s_delay_alu instid0(VALU_DEP_4) | instskip(SKIP_3) | instid1(VALU_DEP_4)
	v_fma_f32 v5, v6, v68, -v7
	v_add_f32_e32 v6, v8, v2
	v_sub_f32_e32 v2, v8, v2
	v_add_f32_e32 v3, v52, v53
	v_dual_add_f32 v11, v4, v5 :: v_dual_sub_f32 v4, v5, v4
	s_delay_alu instid0(VALU_DEP_4) | instskip(SKIP_1) | instid1(VALU_DEP_3)
	v_add_f32_e32 v45, v10, v6
	v_sub_f32_e32 v53, v10, v6
	v_add_f32_e32 v55, v4, v0
	v_sub_f32_e32 v57, v4, v0
	v_sub_f32_e32 v4, v2, v4
	v_dual_add_f32 v1, v58, v59 :: v_dual_sub_f32 v10, v11, v10
	v_sub_f32_e32 v6, v6, v11
	s_delay_alu instid0(VALU_DEP_2) | instskip(SKIP_1) | instid1(VALU_DEP_3)
	v_sub_f32_e32 v54, v1, v3
	v_add_f32_e32 v8, v9, v65
	v_dual_sub_f32 v9, v9, v65 :: v_dual_mul_f32 v6, 0x3f4a47b2, v6
	s_delay_alu instid0(VALU_DEP_2) | instskip(SKIP_1) | instid1(VALU_DEP_3)
	v_add_f32_e32 v5, v8, v1
	v_dual_sub_f32 v52, v8, v1 :: v_dual_sub_f32 v7, v58, v59
	v_sub_f32_e32 v56, v44, v9
	s_delay_alu instid0(VALU_DEP_2)
	v_dual_add_f32 v1, v44, v9 :: v_dual_sub_f32 v44, v7, v44
	v_sub_f32_e32 v8, v3, v8
	v_add_f32_e32 v3, v3, v5
	v_add_f32_e32 v5, v11, v45
	v_sub_f32_e32 v11, v0, v2
	v_mul_f32_e32 v45, 0x3f4a47b2, v54
	v_mul_f32_e32 v54, 0x3f08b237, v56
	v_add_f32_e32 v0, v50, v3
	v_dual_mul_f32 v50, 0x3d64c772, v8 :: v_dual_sub_f32 v9, v9, v7
	s_delay_alu instid0(VALU_DEP_4) | instskip(SKIP_1) | instid1(VALU_DEP_3)
	v_dual_fmamk_f32 v8, v8, 0x3d64c772, v45 :: v_dual_add_f32 v7, v1, v7
	v_fma_f32 v45, 0xbf3bfb3b, v52, -v45
	v_fma_f32 v50, 0x3f3bfb3b, v52, -v50
	v_dual_fmamk_f32 v52, v44, 0xbeae86e6, v54 :: v_dual_add_f32 v1, v51, v5
	v_dual_mul_f32 v51, 0x3d64c772, v10 :: v_dual_fmamk_f32 v10, v10, 0x3d64c772, v6
	v_fmamk_f32 v3, v3, 0xbf955555, v0
	s_delay_alu instid0(VALU_DEP_3) | instskip(SKIP_2) | instid1(VALU_DEP_4)
	v_dual_add_f32 v2, v55, v2 :: v_dual_fmamk_f32 v5, v5, 0xbf955555, v1
	v_mul_f32_e32 v56, 0xbf5ff5aa, v9
	v_fma_f32 v6, 0xbf3bfb3b, v53, -v6
	v_add_f32_e32 v45, v45, v3
	v_mul_f32_e32 v55, 0x3f08b237, v57
	v_dual_add_f32 v58, v10, v5 :: v_dual_mul_f32 v57, 0xbf5ff5aa, v11
	v_fma_f32 v44, 0x3eae86e6, v44, -v56
	v_fma_f32 v54, 0xbf5ff5aa, v9, -v54
	s_delay_alu instid0(VALU_DEP_3) | instskip(NEXT) | instid1(VALU_DEP_1)
	v_fma_f32 v56, 0x3eae86e6, v4, -v57
	v_dual_add_f32 v57, v8, v3 :: v_dual_fmac_f32 v56, 0xbee1c552, v2
	s_delay_alu instid0(VALU_DEP_1) | instskip(SKIP_2) | instid1(VALU_DEP_2)
	v_add_f32_e32 v8, v56, v45
	v_fma_f32 v51, 0x3f3bfb3b, v53, -v51
	v_dual_fmamk_f32 v53, v4, 0xbeae86e6, v55 :: v_dual_add_f32 v4, v50, v3
	v_add_f32_e32 v50, v51, v5
	v_dual_add_f32 v51, v6, v5 :: v_dual_fmac_f32 v52, 0xbee1c552, v7
	v_sub_f32_e32 v6, v45, v56
	v_fma_f32 v55, 0xbf5ff5aa, v11, -v55
	v_dual_fmac_f32 v53, 0xbee1c552, v2 :: v_dual_fmac_f32 v54, 0xbee1c552, v7
	s_delay_alu instid0(VALU_DEP_4) | instskip(NEXT) | instid1(VALU_DEP_2)
	v_dual_fmac_f32 v44, 0xbee1c552, v7 :: v_dual_sub_f32 v3, v58, v52
	v_dual_fmac_f32 v55, 0xbee1c552, v2 :: v_dual_add_f32 v2, v53, v57
	s_delay_alu instid0(VALU_DEP_3) | instskip(NEXT) | instid1(VALU_DEP_3)
	v_add_f32_e32 v11, v54, v50
	v_sub_f32_e32 v9, v51, v44
	s_delay_alu instid0(VALU_DEP_3)
	v_dual_sub_f32 v5, v50, v54 :: v_dual_sub_f32 v10, v4, v55
	v_dual_add_f32 v4, v55, v4 :: v_dual_add_f32 v7, v44, v51
	v_dual_sub_f32 v44, v57, v53 :: v_dual_add_f32 v45, v52, v58
	ds_store_2addr_b64 v66, v[0:1], v[2:3] offset1:9
	ds_store_2addr_b64 v66, v[8:9], v[10:11] offset0:18 offset1:27
	ds_store_2addr_b64 v66, v[4:5], v[6:7] offset0:36 offset1:45
	ds_store_b64 v66, v[44:45] offset:432
	s_waitcnt lgkmcnt(0)
	s_barrier
	buffer_gl0_inv
	s_and_saveexec_b32 s1, s0
	s_cbranch_execz .LBB0_19
; %bb.18:
	v_add_nc_u32_e32 v36, 0x800, v64
	v_add_nc_u32_e32 v40, 0x1000, v64
	ds_load_2addr_b64 v[0:3], v64 offset1:63
	ds_load_2addr_b64 v[8:11], v64 offset0:126 offset1:189
	ds_load_2addr_b64 v[4:7], v48 offset0:124 offset1:187
	;; [unrolled: 1-line block ×5, first 2 shown]
	ds_load_b64 v[61:62], v64 offset:6048
.LBB0_19:
	s_or_b32 exec_lo, exec_lo, s1
	s_and_saveexec_b32 s1, s0
	s_cbranch_execz .LBB0_21
; %bb.20:
	s_waitcnt lgkmcnt(0)
	v_dual_mul_f32 v48, v35, v61 :: v_dual_mul_f32 v49, v29, v2
	v_dual_mul_f32 v50, v33, v42 :: v_dual_mul_f32 v51, v31, v8
	;; [unrolled: 1-line block ×3, first 2 shown]
	s_delay_alu instid0(VALU_DEP_3) | instskip(NEXT) | instid1(VALU_DEP_4)
	v_fma_f32 v48, v34, v62, -v48
	v_fma_f32 v49, v28, v3, -v49
	s_delay_alu instid0(VALU_DEP_4) | instskip(SKIP_2) | instid1(VALU_DEP_4)
	v_fma_f32 v35, v32, v43, -v50
	v_fma_f32 v50, v30, v9, -v51
	v_dual_mul_f32 v53, v31, v9 :: v_dual_fmac_f32 v52, v28, v2
	v_dual_add_f32 v51, v48, v49 :: v_dual_mul_f32 v56, v17, v7
	s_delay_alu instid0(VALU_DEP_3) | instskip(SKIP_1) | instid1(VALU_DEP_3)
	v_dual_add_f32 v28, v35, v50 :: v_dual_mul_f32 v31, v33, v43
	v_fmac_f32_e32 v29, v34, v61
	v_dual_fmac_f32 v53, v30, v8 :: v_dual_mul_f32 v30, 0xbf788fa5, v51
	v_mul_f32_e32 v43, v23, v5
	s_delay_alu instid0(VALU_DEP_4) | instskip(NEXT) | instid1(VALU_DEP_4)
	v_dual_fmac_f32 v31, v32, v42 :: v_dual_mul_f32 v42, v21, v11
	v_dual_sub_f32 v9, v52, v29 :: v_dual_mul_f32 v32, 0x3f62ad3f, v28
	s_delay_alu instid0(VALU_DEP_3) | instskip(NEXT) | instid1(VALU_DEP_3)
	v_dual_fmac_f32 v43, v22, v4 :: v_dual_mul_f32 v34, v21, v10
	v_fmac_f32_e32 v42, v20, v10
	s_delay_alu instid0(VALU_DEP_3) | instskip(SKIP_1) | instid1(VALU_DEP_4)
	v_fmamk_f32 v2, v9, 0x3e750f2a, v30
	v_dual_sub_f32 v8, v53, v31 :: v_dual_mul_f32 v33, v27, v40
	v_fma_f32 v34, v20, v11, -v34
	s_delay_alu instid0(VALU_DEP_3) | instskip(NEXT) | instid1(VALU_DEP_3)
	v_dual_mul_f32 v27, v27, v41 :: v_dual_add_f32 v2, v1, v2
	v_fmamk_f32 v3, v8, 0xbeedf032, v32
	s_delay_alu instid0(VALU_DEP_4) | instskip(SKIP_1) | instid1(VALU_DEP_4)
	v_fma_f32 v33, v26, v41, -v33
	v_mul_f32_e32 v73, 0xbf3f9e67, v51
	v_fmac_f32_e32 v27, v26, v40
	v_mul_f32_e32 v11, v23, v4
	v_add_f32_e32 v2, v3, v2
	v_add_f32_e32 v41, v33, v34
	s_delay_alu instid0(VALU_DEP_4) | instskip(NEXT) | instid1(VALU_DEP_4)
	v_dual_mul_f32 v3, v25, v38 :: v_dual_sub_f32 v10, v42, v27
	v_fma_f32 v40, v22, v5, -v11
	v_mul_f32_e32 v4, v17, v6
	s_delay_alu instid0(VALU_DEP_4) | instskip(NEXT) | instid1(VALU_DEP_4)
	v_mul_f32_e32 v54, 0xbf3f9e67, v41
	v_fma_f32 v26, v24, v39, -v3
	v_dual_mul_f32 v39, v25, v39 :: v_dual_fmac_f32 v56, v16, v6
	v_mul_f32_e32 v3, v15, v36
	s_delay_alu instid0(VALU_DEP_4) | instskip(NEXT) | instid1(VALU_DEP_4)
	v_dual_fmamk_f32 v5, v10, 0x3f29c268, v54 :: v_dual_sub_f32 v58, v49, v48
	v_add_f32_e32 v25, v26, v40
	s_delay_alu instid0(VALU_DEP_4) | instskip(SKIP_1) | instid1(VALU_DEP_4)
	v_fmac_f32_e32 v39, v24, v38
	v_fma_f32 v55, v16, v7, -v4
	v_add_f32_e32 v2, v5, v2
	v_mul_f32_e32 v4, v13, v46
	v_fma_f32 v24, v14, v37, -v3
	v_mul_f32_e32 v5, v19, v44
	v_dual_mul_f32 v37, v15, v37 :: v_dual_mul_f32 v62, 0xbe750f2a, v58
	s_delay_alu instid0(VALU_DEP_4) | instskip(NEXT) | instid1(VALU_DEP_4)
	v_fma_f32 v59, v12, v47, -v4
	v_add_f32_e32 v57, v24, v55
	s_delay_alu instid0(VALU_DEP_4) | instskip(NEXT) | instid1(VALU_DEP_4)
	v_fma_f32 v61, v18, v45, -v5
	v_dual_mul_f32 v38, 0x3f116cb1, v25 :: v_dual_fmac_f32 v37, v14, v36
	v_dual_add_f32 v15, v29, v52 :: v_dual_add_f32 v16, v31, v53
	s_delay_alu instid0(VALU_DEP_4) | instskip(NEXT) | instid1(VALU_DEP_4)
	v_mul_f32_e32 v36, 0xbeb58ec6, v57
	v_add_f32_e32 v66, v59, v61
	s_delay_alu instid0(VALU_DEP_4) | instskip(NEXT) | instid1(VALU_DEP_4)
	v_dual_sub_f32 v11, v43, v39 :: v_dual_sub_f32 v14, v56, v37
	v_dual_sub_f32 v65, v50, v35 :: v_dual_fmamk_f32 v4, v15, 0xbf788fa5, v62
	v_mul_f32_e32 v45, v19, v45
	s_delay_alu instid0(VALU_DEP_3) | instskip(SKIP_1) | instid1(VALU_DEP_4)
	v_dual_fmamk_f32 v3, v11, 0xbf52af12, v38 :: v_dual_sub_f32 v68, v34, v33
	v_dual_mul_f32 v47, v13, v47 :: v_dual_mul_f32 v70, 0x3df6dbef, v66
	v_add_f32_e32 v4, v0, v4
	s_delay_alu instid0(VALU_DEP_3) | instskip(SKIP_4) | instid1(VALU_DEP_3)
	v_dual_add_f32 v2, v3, v2 :: v_dual_fmamk_f32 v3, v14, 0x3f6f5d39, v36
	v_mul_f32_e32 v67, 0x3eedf032, v65
	v_dual_sub_f32 v71, v55, v24 :: v_dual_fmamk_f32 v6, v9, 0x3f29c268, v73
	v_fmac_f32_e32 v45, v18, v44
	v_dual_fmac_f32 v47, v12, v46 :: v_dual_add_f32 v18, v37, v56
	v_mul_f32_e32 v72, 0xbf6f5d39, v71
	v_fmamk_f32 v5, v16, 0x3f62ad3f, v67
	v_dual_mul_f32 v69, 0xbf29c268, v68 :: v_dual_add_f32 v2, v3, v2
	s_delay_alu instid0(VALU_DEP_4) | instskip(SKIP_1) | instid1(VALU_DEP_4)
	v_sub_f32_e32 v12, v45, v47
	v_sub_f32_e32 v44, v40, v26
	v_dual_add_f32 v4, v5, v4 :: v_dual_add_f32 v13, v27, v42
	v_dual_sub_f32 v75, v61, v59 :: v_dual_mul_f32 v78, 0xbf29c268, v58
	s_delay_alu instid0(VALU_DEP_3) | instskip(SKIP_1) | instid1(VALU_DEP_4)
	v_mul_f32_e32 v46, 0x3f52af12, v44
	v_mul_f32_e32 v80, 0x3f7e222b, v65
	v_fmamk_f32 v5, v13, 0xbf3f9e67, v69
	s_delay_alu instid0(VALU_DEP_4) | instskip(SKIP_4) | instid1(VALU_DEP_4)
	v_mul_f32_e32 v77, 0x3f7e222b, v75
	v_fmamk_f32 v7, v15, 0xbf3f9e67, v78
	v_fmamk_f32 v3, v12, 0xbf7e222b, v70
	v_mul_f32_e32 v76, 0x3f116cb1, v41
	v_dual_add_f32 v4, v5, v4 :: v_dual_add_f32 v17, v39, v43
	v_dual_add_f32 v7, v0, v7 :: v_dual_mul_f32 v82, 0xbf52af12, v68
	v_fmamk_f32 v20, v16, 0x3df6dbef, v80
	v_dual_mul_f32 v74, 0x3df6dbef, v28 :: v_dual_add_f32 v3, v3, v2
	s_delay_alu instid0(VALU_DEP_4) | instskip(SKIP_2) | instid1(VALU_DEP_3)
	v_fmamk_f32 v5, v17, 0x3f116cb1, v46
	v_dual_mul_f32 v84, 0xbeb58ec6, v66 :: v_dual_mul_f32 v85, 0xbeb58ec6, v51
	v_mul_f32_e32 v86, 0x3eedf032, v71
	v_dual_mul_f32 v91, 0x3df6dbef, v25 :: v_dual_add_f32 v4, v5, v4
	v_fmamk_f32 v5, v18, 0xbeb58ec6, v72
	s_delay_alu instid0(VALU_DEP_3) | instskip(SKIP_1) | instid1(VALU_DEP_3)
	v_dual_mul_f32 v88, 0x3f62ad3f, v41 :: v_dual_fmamk_f32 v21, v18, 0x3f62ad3f, v86
	v_mul_f32_e32 v98, 0x3e750f2a, v71
	v_dual_mul_f32 v93, 0xbf788fa5, v57 :: v_dual_add_f32 v2, v5, v4
	v_dual_add_f32 v4, v1, v6 :: v_dual_add_f32 v19, v47, v45
	s_delay_alu instid0(VALU_DEP_2) | instskip(SKIP_2) | instid1(VALU_DEP_4)
	v_dual_mul_f32 v104, 0xbe750f2a, v65 :: v_dual_fmamk_f32 v23, v14, 0xbe750f2a, v93
	v_mul_f32_e32 v92, 0x3f29c268, v65
	v_mul_f32_e32 v87, 0xbf3f9e67, v28
	v_fmamk_f32 v6, v19, 0x3df6dbef, v77
	v_dual_mul_f32 v89, 0xbf6f5d39, v75 :: v_dual_mul_f32 v90, 0xbf6f5d39, v58
	s_delay_alu instid0(VALU_DEP_4) | instskip(NEXT) | instid1(VALU_DEP_3)
	v_fmamk_f32 v22, v16, 0xbf3f9e67, v92
	v_dual_mul_f32 v83, 0x3e750f2a, v44 :: v_dual_add_f32 v2, v6, v2
	v_add_f32_e32 v6, v20, v7
	v_fmamk_f32 v20, v9, 0x3f6f5d39, v85
	v_fmamk_f32 v5, v8, 0xbf7e222b, v74
	v_dual_fmamk_f32 v7, v13, 0x3f116cb1, v82 :: v_dual_mul_f32 v96, 0x3f116cb1, v66
	v_mul_f32_e32 v105, 0x3f116cb1, v57
	v_dual_mul_f32 v95, 0xbf7e222b, v44 :: v_dual_mul_f32 v102, 0xbf7e222b, v58
	s_delay_alu instid0(VALU_DEP_4) | instskip(SKIP_2) | instid1(VALU_DEP_3)
	v_dual_add_f32 v4, v5, v4 :: v_dual_fmamk_f32 v5, v10, 0x3f52af12, v76
	v_mul_f32_e32 v79, 0xbf788fa5, v25
	v_dual_mul_f32 v99, 0xbf788fa5, v28 :: v_dual_fmamk_f32 v106, v16, 0xbf788fa5, v104
	v_dual_mul_f32 v101, 0x3f52af12, v75 :: v_dual_add_f32 v4, v5, v4
	s_delay_alu instid0(VALU_DEP_3) | instskip(SKIP_3) | instid1(VALU_DEP_4)
	v_fmamk_f32 v5, v11, 0xbe750f2a, v79
	v_dual_mul_f32 v110, 0xbf52af12, v71 :: v_dual_add_f32 v49, v49, v1
	v_mul_f32_e32 v111, 0xbeb58ec6, v28
	v_mul_f32_e32 v124, 0x3f116cb1, v28
	v_dual_add_f32 v4, v5, v4 :: v_dual_mul_f32 v81, 0x3f62ad3f, v57
	v_mul_f32_e32 v97, 0x3df6dbef, v51
	v_mul_f32_e32 v115, 0xbf788fa5, v41
	s_delay_alu instid0(VALU_DEP_4)
	v_fmamk_f32 v125, v8, 0x3f52af12, v124
	v_fmamk_f32 v114, v8, 0x3f6f5d39, v111
	;; [unrolled: 1-line block ×3, first 2 shown]
	v_mul_f32_e32 v117, 0xbf6f5d39, v65
	v_mul_f32_e32 v120, 0xbe750f2a, v68
	;; [unrolled: 1-line block ×3, first 2 shown]
	v_fmac_f32_e32 v74, 0x3f7e222b, v8
	v_dual_add_f32 v4, v5, v4 :: v_dual_add_f32 v5, v7, v6
	v_fmamk_f32 v7, v12, 0x3f6f5d39, v84
	v_fmamk_f32 v6, v17, 0xbf788fa5, v83
	;; [unrolled: 1-line block ×3, first 2 shown]
	v_dual_fmac_f32 v54, 0xbf29c268, v10 :: v_dual_fmac_f32 v73, 0xbf29c268, v9
	v_fmac_f32_e32 v70, 0x3f7e222b, v12
	s_delay_alu instid0(VALU_DEP_4) | instskip(SKIP_1) | instid1(VALU_DEP_2)
	v_dual_add_f32 v6, v6, v5 :: v_dual_add_f32 v5, v7, v4
	v_dual_add_f32 v4, v1, v20 :: v_dual_fmamk_f32 v7, v8, 0xbf29c268, v87
	v_dual_mul_f32 v103, 0x3f62ad3f, v25 :: v_dual_add_f32 v6, v21, v6
	v_fmamk_f32 v21, v15, 0xbeb58ec6, v90
	v_fmac_f32_e32 v76, 0xbf52af12, v10
	s_delay_alu instid0(VALU_DEP_4) | instskip(NEXT) | instid1(VALU_DEP_3)
	v_dual_add_f32 v4, v7, v4 :: v_dual_fmamk_f32 v7, v10, 0xbeedf032, v88
	v_dual_fmac_f32 v84, 0xbf6f5d39, v12 :: v_dual_add_f32 v21, v0, v21
	v_fmac_f32_e32 v32, 0x3eedf032, v8
	s_delay_alu instid0(VALU_DEP_3) | instskip(SKIP_4) | instid1(VALU_DEP_4)
	v_dual_fmamk_f32 v113, v18, 0x3f116cb1, v110 :: v_dual_add_f32 v4, v7, v4
	v_fmamk_f32 v7, v11, 0x3f7e222b, v91
	v_mul_f32_e32 v109, 0xbf3f9e67, v66
	v_fmac_f32_e32 v85, 0xbf6f5d39, v9
	v_fmac_f32_e32 v81, 0x3eedf032, v14
	v_dual_fmac_f32 v30, 0xbe750f2a, v9 :: v_dual_add_f32 v7, v7, v4
	s_delay_alu instid0(VALU_DEP_4)
	v_fmamk_f32 v112, v12, 0x3f29c268, v109
	v_fmac_f32_e32 v109, 0xbf29c268, v12
	v_fmac_f32_e32 v88, 0x3eedf032, v10
	;; [unrolled: 1-line block ×3, first 2 shown]
	v_add_f32_e32 v7, v23, v7
	v_fmamk_f32 v20, v19, 0xbeb58ec6, v89
	v_dual_fmamk_f32 v23, v15, 0x3df6dbef, v102 :: v_dual_add_f32 v30, v1, v30
	v_fmac_f32_e32 v79, 0x3e750f2a, v11
	s_delay_alu instid0(VALU_DEP_3) | instskip(SKIP_1) | instid1(VALU_DEP_4)
	v_dual_fmac_f32 v91, 0xbf7e222b, v11 :: v_dual_add_f32 v4, v20, v6
	v_dual_add_f32 v6, v22, v21 :: v_dual_fmamk_f32 v21, v12, 0xbf52af12, v96
	v_dual_fmamk_f32 v22, v9, 0x3f7e222b, v97 :: v_dual_add_f32 v23, v0, v23
	v_mul_f32_e32 v94, 0x3eedf032, v68
	v_mul_f32_e32 v107, 0x3f6f5d39, v68
	s_delay_alu instid0(VALU_DEP_4) | instskip(NEXT) | instid1(VALU_DEP_4)
	v_add_f32_e32 v7, v21, v7
	v_dual_add_f32 v21, v1, v22 :: v_dual_fmamk_f32 v22, v8, 0x3e750f2a, v99
	s_delay_alu instid0(VALU_DEP_4) | instskip(SKIP_3) | instid1(VALU_DEP_4)
	v_fmamk_f32 v20, v13, 0x3f62ad3f, v94
	v_dual_add_f32 v30, v32, v30 :: v_dual_fmac_f32 v97, 0xbf7e222b, v9
	v_fmac_f32_e32 v99, 0xbe750f2a, v8
	v_fmac_f32_e32 v96, 0x3f52af12, v12
	v_add_f32_e32 v6, v20, v6
	v_fmamk_f32 v20, v17, 0x3df6dbef, v95
	v_add_f32_e32 v30, v54, v30
	v_fmac_f32_e32 v38, 0x3f52af12, v11
	v_fma_f32 v32, 0xbf3f9e67, v15, -v78
	s_delay_alu instid0(VALU_DEP_4) | instskip(SKIP_2) | instid1(VALU_DEP_2)
	v_add_f32_e32 v6, v20, v6
	v_fmamk_f32 v20, v18, 0xbf788fa5, v98
	v_fmac_f32_e32 v93, 0x3e750f2a, v14
	v_add_f32_e32 v6, v20, v6
	v_add_f32_e32 v20, v22, v21
	v_fmamk_f32 v22, v19, 0x3f116cb1, v101
	s_delay_alu instid0(VALU_DEP_1) | instskip(SKIP_3) | instid1(VALU_DEP_2)
	v_add_f32_e32 v6, v22, v6
	v_add_f32_e32 v22, v106, v23
	v_dual_mul_f32 v100, 0xbeb58ec6, v41 :: v_dual_fmamk_f32 v23, v13, 0xbeb58ec6, v107
	v_mul_f32_e32 v41, 0x3df6dbef, v41
	v_fmamk_f32 v21, v10, 0xbf6f5d39, v100
	v_fmac_f32_e32 v100, 0x3f6f5d39, v10
	s_delay_alu instid0(VALU_DEP_2) | instskip(NEXT) | instid1(VALU_DEP_1)
	v_dual_add_f32 v20, v21, v20 :: v_dual_fmamk_f32 v21, v11, 0xbeedf032, v103
	v_dual_fmac_f32 v103, 0x3eedf032, v11 :: v_dual_add_f32 v20, v21, v20
	v_fmamk_f32 v21, v14, 0x3f52af12, v105
	s_delay_alu instid0(VALU_DEP_1) | instskip(SKIP_4) | instid1(VALU_DEP_3)
	v_dual_fmac_f32 v105, 0xbf52af12, v14 :: v_dual_add_f32 v20, v21, v20
	v_mul_f32_e32 v108, 0x3f116cb1, v51
	v_mul_f32_e32 v51, 0x3f62ad3f, v51
	v_dual_mul_f32 v106, 0x3eedf032, v44 :: v_dual_add_f32 v21, v23, v22
	v_mul_f32_e32 v44, 0xbf6f5d39, v44
	v_fmamk_f32 v123, v9, 0x3eedf032, v51
	s_delay_alu instid0(VALU_DEP_3) | instskip(NEXT) | instid1(VALU_DEP_1)
	v_fmamk_f32 v22, v17, 0x3f62ad3f, v106
	v_dual_add_f32 v123, v1, v123 :: v_dual_add_f32 v22, v22, v21
	v_dual_add_f32 v21, v112, v20 :: v_dual_mul_f32 v112, 0xbf52af12, v58
	v_dual_fmac_f32 v36, 0xbf6f5d39, v14 :: v_dual_fmac_f32 v111, 0xbf6f5d39, v8
	s_delay_alu instid0(VALU_DEP_3) | instskip(NEXT) | instid1(VALU_DEP_3)
	v_add_f32_e32 v20, v113, v22
	v_dual_add_f32 v123, v125, v123 :: v_dual_fmamk_f32 v116, v15, 0x3f116cb1, v112
	v_fmamk_f32 v23, v9, 0x3f52af12, v108
	v_fmamk_f32 v125, v10, 0x3f7e222b, v41
	v_mul_f32_e32 v118, 0x3df6dbef, v57
	v_fmac_f32_e32 v108, 0xbf52af12, v9
	s_delay_alu instid0(VALU_DEP_4) | instskip(NEXT) | instid1(VALU_DEP_1)
	v_dual_add_f32 v116, v0, v116 :: v_dual_add_f32 v23, v1, v23
	v_add_f32_e32 v116, v119, v116
	s_delay_alu instid0(VALU_DEP_2) | instskip(SKIP_3) | instid1(VALU_DEP_3)
	v_add_f32_e32 v22, v114, v23
	v_mul_f32_e32 v114, 0xbf29c268, v75
	v_fmamk_f32 v23, v10, 0x3e750f2a, v115
	v_fmamk_f32 v119, v13, 0xbf788fa5, v120
	;; [unrolled: 1-line block ×3, first 2 shown]
	s_delay_alu instid0(VALU_DEP_3) | instskip(NEXT) | instid1(VALU_DEP_1)
	v_dual_mul_f32 v113, 0xbf3f9e67, v25 :: v_dual_add_f32 v22, v23, v22
	v_dual_add_f32 v20, v121, v20 :: v_dual_fmamk_f32 v23, v11, 0xbf29c268, v113
	v_mul_f32_e32 v121, 0x3f62ad3f, v66
	s_delay_alu instid0(VALU_DEP_2) | instskip(SKIP_1) | instid1(VALU_DEP_3)
	v_dual_fmac_f32 v113, 0x3f29c268, v11 :: v_dual_add_f32 v22, v23, v22
	v_fmamk_f32 v23, v14, 0xbf7e222b, v118
	v_fmamk_f32 v126, v12, 0xbeedf032, v121
	v_fmac_f32_e32 v115, 0xbe750f2a, v10
	s_delay_alu instid0(VALU_DEP_3) | instskip(SKIP_2) | instid1(VALU_DEP_1)
	v_add_f32_e32 v22, v23, v22
	v_dual_add_f32 v23, v119, v116 :: v_dual_fmamk_f32 v116, v17, 0xbf3f9e67, v122
	v_mul_f32_e32 v119, 0x3f7e222b, v71
	v_dual_add_f32 v23, v116, v23 :: v_dual_fmamk_f32 v28, v18, 0x3df6dbef, v119
	v_mul_f32_e32 v116, 0x3eedf032, v75
	s_delay_alu instid0(VALU_DEP_1) | instskip(SKIP_1) | instid1(VALU_DEP_2)
	v_dual_add_f32 v28, v28, v23 :: v_dual_fmamk_f32 v127, v19, 0x3f62ad3f, v116
	v_dual_add_f32 v23, v126, v22 :: v_dual_mul_f32 v126, 0xbeb58ec6, v25
	v_add_f32_e32 v22, v127, v28
	v_dual_add_f32 v28, v50, v49 :: v_dual_add_f32 v49, v0, v52
	v_mul_f32_e32 v52, 0xbf3f9e67, v57
	s_delay_alu instid0(VALU_DEP_2) | instskip(NEXT) | instid1(VALU_DEP_3)
	v_dual_mul_f32 v57, 0xbeedf032, v58 :: v_dual_add_f32 v28, v34, v28
	v_add_f32_e32 v34, v53, v49
	v_dual_add_f32 v32, v0, v32 :: v_dual_fmac_f32 v51, 0xbeedf032, v9
	s_delay_alu instid0(VALU_DEP_3) | instskip(NEXT) | instid1(VALU_DEP_4)
	v_fma_f32 v9, 0x3f62ad3f, v15, -v57
	v_add_f32_e32 v28, v40, v28
	s_delay_alu instid0(VALU_DEP_4) | instskip(SKIP_1) | instid1(VALU_DEP_3)
	v_add_f32_e32 v34, v42, v34
	v_mul_f32_e32 v40, 0xbf52af12, v65
	v_dual_fmac_f32 v41, 0xbf7e222b, v10 :: v_dual_add_f32 v28, v55, v28
	s_delay_alu instid0(VALU_DEP_2) | instskip(SKIP_1) | instid1(VALU_DEP_3)
	v_dual_add_f32 v34, v43, v34 :: v_dual_fmamk_f32 v43, v16, 0x3f116cb1, v40
	v_dual_add_f32 v25, v125, v123 :: v_dual_fmac_f32 v118, 0x3f7e222b, v14
	v_add_f32_e32 v28, v61, v28
	s_delay_alu instid0(VALU_DEP_3) | instskip(NEXT) | instid1(VALU_DEP_2)
	v_add_f32_e32 v34, v56, v34
	v_add_f32_e32 v28, v59, v28
	s_delay_alu instid0(VALU_DEP_2) | instskip(NEXT) | instid1(VALU_DEP_2)
	v_add_f32_e32 v34, v45, v34
	v_add_f32_e32 v24, v24, v28
	s_delay_alu instid0(VALU_DEP_2) | instskip(SKIP_1) | instid1(VALU_DEP_3)
	v_add_f32_e32 v28, v47, v34
	v_mul_f32_e32 v34, 0xbf29c268, v71
	v_add_f32_e32 v24, v26, v24
	s_delay_alu instid0(VALU_DEP_3) | instskip(NEXT) | instid1(VALU_DEP_2)
	v_dual_add_f32 v26, v37, v28 :: v_dual_mul_f32 v37, 0xbe750f2a, v75
	v_add_f32_e32 v24, v33, v24
	s_delay_alu instid0(VALU_DEP_2) | instskip(NEXT) | instid1(VALU_DEP_3)
	v_add_f32_e32 v26, v39, v26
	v_fmamk_f32 v33, v19, 0xbf788fa5, v37
	v_fma_f32 v39, 0xbf788fa5, v16, -v104
	s_delay_alu instid0(VALU_DEP_4) | instskip(NEXT) | instid1(VALU_DEP_4)
	v_add_f32_e32 v35, v35, v24
	v_add_f32_e32 v26, v27, v26
	v_fmamk_f32 v50, v11, 0x3f6f5d39, v126
	v_fmac_f32_e32 v126, 0xbf6f5d39, v11
	s_delay_alu instid0(VALU_DEP_3) | instskip(NEXT) | instid1(VALU_DEP_3)
	v_dual_add_f32 v27, v48, v35 :: v_dual_add_f32 v26, v31, v26
	v_dual_add_f32 v25, v50, v25 :: v_dual_fmamk_f32 v50, v15, 0x3f62ad3f, v57
	v_dual_add_f32 v35, v1, v85 :: v_dual_fmamk_f32 v28, v18, 0xbf3f9e67, v34
	s_delay_alu instid0(VALU_DEP_3) | instskip(SKIP_1) | instid1(VALU_DEP_4)
	v_add_f32_e32 v26, v29, v26
	v_add_f32_e32 v29, v38, v30
	v_dual_fmamk_f32 v49, v14, 0x3f29c268, v52 :: v_dual_add_f32 v42, v0, v50
	v_mul_f32_e32 v50, 0xbf788fa5, v66
	v_fma_f32 v31, 0x3f62ad3f, v16, -v67
	s_delay_alu instid0(VALU_DEP_4) | instskip(NEXT) | instid1(VALU_DEP_4)
	v_add_f32_e32 v29, v36, v29
	v_add_f32_e32 v25, v49, v25
	v_dual_mul_f32 v49, 0xbf7e222b, v68 :: v_dual_add_f32 v42, v43, v42
	v_fma_f32 v30, 0xbf3f9e67, v13, -v69
	v_fmac_f32_e32 v124, 0xbf52af12, v8
	v_add_f32_e32 v38, v1, v97
	s_delay_alu instid0(VALU_DEP_4)
	v_fmamk_f32 v43, v13, 0x3df6dbef, v49
	v_fmac_f32_e32 v121, 0x3eedf032, v12
	v_fma_f32 v10, 0xbf3f9e67, v17, -v122
	v_fma_f32 v36, 0xbeb58ec6, v19, -v89
	v_fmac_f32_e32 v52, 0xbf29c268, v14
	v_dual_add_f32 v42, v43, v42 :: v_dual_fmamk_f32 v43, v17, 0xbeb58ec6, v44
	v_fmamk_f32 v45, v12, 0x3e750f2a, v50
	v_fmac_f32_e32 v50, 0xbe750f2a, v12
	v_fma_f32 v12, 0xbf788fa5, v19, -v37
	s_delay_alu instid0(VALU_DEP_4) | instskip(SKIP_1) | instid1(VALU_DEP_2)
	v_add_f32_e32 v42, v43, v42
	v_fma_f32 v43, 0x3f116cb1, v18, -v110
	v_dual_add_f32 v25, v45, v25 :: v_dual_add_f32 v28, v28, v42
	v_fma_f32 v42, 0x3f116cb1, v19, -v101
	s_delay_alu instid0(VALU_DEP_2) | instskip(SKIP_2) | instid1(VALU_DEP_2)
	v_add_f32_e32 v24, v33, v28
	v_fma_f32 v28, 0xbf788fa5, v15, -v62
	v_fma_f32 v33, 0x3df6dbef, v16, -v80
	v_add_f32_e32 v28, v0, v28
	s_delay_alu instid0(VALU_DEP_2) | instskip(SKIP_1) | instid1(VALU_DEP_3)
	v_add_f32_e32 v32, v33, v32
	v_fma_f32 v33, 0x3f116cb1, v13, -v82
	v_dual_add_f32 v28, v31, v28 :: v_dual_add_f32 v31, v1, v73
	s_delay_alu instid0(VALU_DEP_1) | instskip(SKIP_1) | instid1(VALU_DEP_1)
	v_add_f32_e32 v28, v30, v28
	v_fma_f32 v30, 0x3f116cb1, v17, -v46
	v_add_f32_e32 v28, v30, v28
	v_fma_f32 v30, 0xbeb58ec6, v18, -v72
	s_delay_alu instid0(VALU_DEP_1) | instskip(SKIP_1) | instid1(VALU_DEP_1)
	v_add_f32_e32 v28, v30, v28
	v_fma_f32 v30, 0x3df6dbef, v19, -v77
	v_add_f32_e32 v28, v30, v28
	v_add_f32_e32 v30, v33, v32
	v_fma_f32 v32, 0xbf788fa5, v17, -v83
	v_add_f32_e32 v33, v87, v35
	v_fma_f32 v35, 0xbeb58ec6, v15, -v90
	s_delay_alu instid0(VALU_DEP_3) | instskip(SKIP_1) | instid1(VALU_DEP_1)
	v_add_f32_e32 v30, v32, v30
	v_fma_f32 v32, 0x3f62ad3f, v18, -v86
	v_add_f32_e32 v30, v32, v30
	s_delay_alu instid0(VALU_DEP_4) | instskip(SKIP_1) | instid1(VALU_DEP_3)
	v_add_f32_e32 v32, v0, v35
	v_fma_f32 v35, 0xbf3f9e67, v16, -v92
	v_add_f32_e32 v30, v36, v30
	v_add_f32_e32 v36, v99, v38
	s_delay_alu instid0(VALU_DEP_3) | instskip(SKIP_2) | instid1(VALU_DEP_2)
	v_add_f32_e32 v32, v35, v32
	v_fma_f32 v35, 0x3f62ad3f, v13, -v94
	v_fma_f32 v38, 0xbf788fa5, v18, -v98
	v_add_f32_e32 v32, v35, v32
	v_fma_f32 v35, 0x3df6dbef, v17, -v95
	s_delay_alu instid0(VALU_DEP_1) | instskip(SKIP_1) | instid1(VALU_DEP_1)
	v_add_f32_e32 v32, v35, v32
	v_fma_f32 v35, 0x3df6dbef, v15, -v102
	v_dual_add_f32 v32, v38, v32 :: v_dual_add_f32 v35, v0, v35
	v_add_f32_e32 v38, v1, v108
	v_add_f32_e32 v1, v1, v51
	ds_store_2addr_b64 v64, v[26:27], v[24:25] offset1:63
	v_add_f32_e32 v32, v42, v32
	v_fma_f32 v42, 0x3f116cb1, v15, -v112
	v_add_f32_e32 v35, v39, v35
	v_add_f32_e32 v31, v74, v31
	v_fma_f32 v8, 0x3f116cb1, v16, -v40
	v_add_f32_e32 v1, v124, v1
	;; [unrolled: 3-line block ×3, first 2 shown]
	v_fma_f32 v39, 0xbeb58ec6, v13, -v107
	v_dual_add_f32 v1, v41, v1 :: v_dual_add_f32 v38, v111, v38
	s_delay_alu instid0(VALU_DEP_4)
	v_add_f32_e32 v9, v42, v15
	v_fma_f32 v15, 0xbf788fa5, v13, -v120
	v_add_f32_e32 v0, v8, v0
	v_fma_f32 v8, 0x3df6dbef, v13, -v49
	v_add_nc_u32_e32 v13, 0x1000, v64
	v_add_f32_e32 v1, v126, v1
	v_add_f32_e32 v9, v15, v9
	s_delay_alu instid0(VALU_DEP_4) | instskip(SKIP_1) | instid1(VALU_DEP_4)
	v_dual_add_f32 v35, v39, v35 :: v_dual_add_f32 v0, v8, v0
	v_fma_f32 v8, 0xbeb58ec6, v17, -v44
	v_add_f32_e32 v11, v52, v1
	s_delay_alu instid0(VALU_DEP_4) | instskip(SKIP_4) | instid1(VALU_DEP_4)
	v_add_f32_e32 v9, v10, v9
	v_fma_f32 v10, 0x3df6dbef, v18, -v119
	v_fma_f32 v39, 0x3f62ad3f, v17, -v106
	v_add_f32_e32 v0, v8, v0
	v_fma_f32 v8, 0xbf3f9e67, v18, -v34
	v_dual_add_f32 v38, v115, v38 :: v_dual_add_f32 v9, v10, v9
	v_fma_f32 v10, 0x3f62ad3f, v19, -v116
	s_delay_alu instid0(VALU_DEP_3) | instskip(NEXT) | instid1(VALU_DEP_3)
	v_dual_add_f32 v39, v39, v35 :: v_dual_add_f32 v8, v8, v0
	v_dual_add_f32 v31, v76, v31 :: v_dual_add_f32 v38, v113, v38
	s_delay_alu instid0(VALU_DEP_3) | instskip(SKIP_2) | instid1(VALU_DEP_4)
	v_add_f32_e32 v0, v10, v9
	v_add_f32_e32 v9, v50, v11
	v_add_nc_u32_e32 v11, 0x800, v64
	v_dual_add_f32 v36, v100, v36 :: v_dual_add_f32 v31, v79, v31
	v_add_f32_e32 v38, v118, v38
	v_dual_add_f32 v29, v70, v29 :: v_dual_add_nc_u32 v10, 0x400, v64
	s_delay_alu instid0(VALU_DEP_3) | instskip(SKIP_1) | instid1(VALU_DEP_4)
	v_dual_add_f32 v36, v103, v36 :: v_dual_add_f32 v31, v81, v31
	v_add_f32_e32 v8, v12, v8
	v_dual_add_f32 v1, v121, v38 :: v_dual_add_nc_u32 v12, 0xc00, v64
	s_delay_alu instid0(VALU_DEP_3) | instskip(NEXT) | instid1(VALU_DEP_1)
	v_dual_add_f32 v36, v105, v36 :: v_dual_add_f32 v31, v84, v31
	v_add_f32_e32 v35, v109, v36
	v_dual_add_f32 v33, v88, v33 :: v_dual_add_f32 v36, v43, v39
	v_fma_f32 v39, 0xbf3f9e67, v19, -v114
	s_delay_alu instid0(VALU_DEP_2) | instskip(NEXT) | instid1(VALU_DEP_1)
	v_add_f32_e32 v33, v91, v33
	v_dual_add_f32 v34, v39, v36 :: v_dual_add_f32 v33, v93, v33
	s_delay_alu instid0(VALU_DEP_1)
	v_add_f32_e32 v33, v96, v33
	ds_store_2addr_b64 v64, v[22:23], v[20:21] offset0:126 offset1:189
	ds_store_2addr_b64 v10, v[6:7], v[4:5] offset0:124 offset1:187
	;; [unrolled: 1-line block ×5, first 2 shown]
	ds_store_b64 v64, v[8:9] offset:6048
.LBB0_21:
	s_or_b32 exec_lo, exec_lo, s1
	s_waitcnt lgkmcnt(0)
	s_barrier
	buffer_gl0_inv
	s_and_b32 exec_lo, exec_lo, vcc_lo
	s_cbranch_execz .LBB0_23
; %bb.22:
	s_clause 0x5
	global_load_b64 v[16:17], v64, s[14:15]
	global_load_b64 v[18:19], v64, s[14:15] offset:728
	global_load_b64 v[20:21], v64, s[14:15] offset:1456
	;; [unrolled: 1-line block ×5, first 2 shown]
	v_add_co_u32 v0, s0, s14, v64
	s_delay_alu instid0(VALU_DEP_1) | instskip(SKIP_1) | instid1(VALU_DEP_2)
	v_add_co_ci_u32_e64 v1, null, s15, 0, s0
	s_mov_b32 s0, 0x14014014
	v_add_co_u32 v0, vcc_lo, 0x1000, v0
	s_delay_alu instid0(VALU_DEP_2)
	v_add_co_ci_u32_e32 v1, vcc_lo, 0, v1, vcc_lo
	s_mov_b32 s1, 0x3f540140
	v_mad_u64_u32 v[36:37], null, s6, v60, 0
	s_clause 0x2
	global_load_b64 v[28:29], v[0:1], off offset:272
	global_load_b64 v[30:31], v[0:1], off offset:1000
	;; [unrolled: 1-line block ×3, first 2 shown]
	ds_load_b64 v[34:35], v64
	ds_load_2addr_b64 v[0:3], v64 offset0:91 offset1:182
	v_add_nc_u32_e32 v4, 0x800, v64
	v_add_nc_u32_e32 v8, 0xc00, v64
	;; [unrolled: 1-line block ×3, first 2 shown]
	v_mad_u64_u32 v[38:39], null, s4, v63, 0
	s_mul_i32 s2, s5, 0x2d8
	s_mul_hi_u32 s3, s4, 0x2d8
	s_delay_alu instid0(SALU_CYCLE_1)
	s_add_i32 s3, s3, s2
	s_waitcnt vmcnt(8) lgkmcnt(1)
	v_mul_f32_e32 v40, v35, v17
	v_mul_f32_e32 v17, v34, v17
	s_waitcnt vmcnt(7) lgkmcnt(0)
	v_mul_f32_e32 v41, v1, v19
	ds_load_2addr_b64 v[4:7], v4 offset0:17 offset1:108
	ds_load_2addr_b64 v[8:11], v8 offset0:71 offset1:162
	v_mul_f32_e32 v19, v0, v19
	ds_load_2addr_b64 v[12:15], v12 offset0:125 offset1:216
	s_waitcnt vmcnt(6)
	v_mul_f32_e32 v42, v3, v21
	v_mul_f32_e32 v21, v2, v21
	s_waitcnt vmcnt(5) lgkmcnt(2)
	v_mul_f32_e32 v43, v5, v23
	s_waitcnt vmcnt(4)
	v_dual_mul_f32 v23, v4, v23 :: v_dual_mul_f32 v44, v7, v25
	s_waitcnt vmcnt(3) lgkmcnt(1)
	v_mul_f32_e32 v45, v9, v27
	v_dual_mul_f32 v27, v8, v27 :: v_dual_fmac_f32 v40, v34, v16
	v_dual_fmac_f32 v41, v0, v18 :: v_dual_fmac_f32 v42, v2, v20
	v_mul_f32_e32 v25, v6, v25
	v_fma_f32 v16, v16, v35, -v17
	v_fma_f32 v17, v18, v1, -v19
	v_fmac_f32_e32 v45, v8, v26
	v_cvt_f64_f32_e32 v[0:1], v40
	s_waitcnt vmcnt(2)
	v_mul_f32_e32 v40, v11, v29
	v_mul_f32_e32 v29, v10, v29
	v_fma_f32 v18, v20, v3, -v21
	v_dual_fmac_f32 v43, v4, v22 :: v_dual_fmac_f32 v44, v6, v24
	v_fma_f32 v20, v22, v5, -v23
	v_cvt_f64_f32_e32 v[4:5], v41
	s_waitcnt vmcnt(1) lgkmcnt(0)
	v_mul_f32_e32 v41, v13, v31
	v_dual_mul_f32 v31, v12, v31 :: v_dual_fmac_f32 v40, v10, v28
	v_fma_f32 v34, v26, v9, -v27
	v_cvt_f64_f32_e32 v[8:9], v42
	s_waitcnt vmcnt(0)
	v_mul_f32_e32 v42, v15, v33
	v_mul_f32_e32 v33, v14, v33
	v_fma_f32 v24, v24, v7, -v25
	v_cvt_f64_f32_e32 v[2:3], v16
	v_cvt_f64_f32_e32 v[6:7], v17
	v_fma_f32 v28, v28, v11, -v29
	v_cvt_f64_f32_e32 v[16:17], v18
	v_dual_fmac_f32 v41, v12, v30 :: v_dual_fmac_f32 v42, v14, v32
	v_fma_f32 v29, v30, v13, -v31
	v_cvt_f64_f32_e32 v[18:19], v43
	v_cvt_f64_f32_e32 v[20:21], v20
	v_fma_f32 v32, v32, v15, -v33
	v_cvt_f64_f32_e32 v[22:23], v44
	v_cvt_f64_f32_e32 v[24:25], v24
	;; [unrolled: 1-line block ×10, first 2 shown]
	v_mad_u64_u32 v[40:41], null, s7, v60, v[37:38]
	v_mul_f64 v[0:1], v[0:1], s[0:1]
	s_delay_alu instid0(VALU_DEP_2) | instskip(SKIP_3) | instid1(VALU_DEP_4)
	v_mad_u64_u32 v[41:42], null, s5, v63, v[39:40]
	v_mul_f64 v[4:5], v[4:5], s[0:1]
	v_mov_b32_e32 v37, v40
	v_mul_f64 v[8:9], v[8:9], s[0:1]
	v_mov_b32_e32 v39, v41
	s_delay_alu instid0(VALU_DEP_3)
	v_lshlrev_b64 v[36:37], 3, v[36:37]
	v_mul_f64 v[2:3], v[2:3], s[0:1]
	v_mul_f64 v[6:7], v[6:7], s[0:1]
	;; [unrolled: 1-line block ×3, first 2 shown]
	v_lshlrev_b64 v[38:39], 3, v[38:39]
	v_add_co_u32 v36, vcc_lo, s12, v36
	v_mul_f64 v[18:19], v[18:19], s[0:1]
	v_mul_f64 v[20:21], v[20:21], s[0:1]
	v_add_co_ci_u32_e32 v37, vcc_lo, s13, v37, vcc_lo
	v_mul_f64 v[22:23], v[22:23], s[0:1]
	v_mul_f64 v[24:25], v[24:25], s[0:1]
	;; [unrolled: 1-line block ×10, first 2 shown]
	v_add_co_u32 v36, vcc_lo, v36, v38
	v_add_co_ci_u32_e32 v37, vcc_lo, v37, v39, vcc_lo
	s_mul_i32 s0, s4, 0x2d8
	v_cvt_f32_f64_e32 v0, v[0:1]
	s_delay_alu instid0(VALU_DEP_3) | instskip(NEXT) | instid1(VALU_DEP_3)
	v_add_co_u32 v38, vcc_lo, v36, s0
	v_add_co_ci_u32_e32 v39, vcc_lo, s3, v37, vcc_lo
	s_delay_alu instid0(VALU_DEP_2) | instskip(NEXT) | instid1(VALU_DEP_2)
	v_add_co_u32 v40, vcc_lo, v38, s0
	v_add_co_ci_u32_e32 v41, vcc_lo, s3, v39, vcc_lo
	v_cvt_f32_f64_e32 v1, v[2:3]
	v_cvt_f32_f64_e32 v2, v[4:5]
	;; [unrolled: 1-line block ×7, first 2 shown]
	v_add_co_u32 v18, vcc_lo, v40, s0
	v_cvt_f32_f64_e32 v8, v[22:23]
	v_cvt_f32_f64_e32 v9, v[24:25]
	v_cvt_f32_f64_e32 v16, v[26:27]
	v_cvt_f32_f64_e32 v17, v[34:35]
	v_cvt_f32_f64_e32 v10, v[10:11]
	v_cvt_f32_f64_e32 v11, v[12:13]
	v_cvt_f32_f64_e32 v12, v[14:15]
	v_cvt_f32_f64_e32 v13, v[28:29]
	v_cvt_f32_f64_e32 v14, v[30:31]
	v_cvt_f32_f64_e32 v15, v[32:33]
	v_add_co_ci_u32_e32 v19, vcc_lo, s3, v41, vcc_lo
	v_add_co_u32 v20, vcc_lo, v18, s0
	s_delay_alu instid0(VALU_DEP_2) | instskip(NEXT) | instid1(VALU_DEP_2)
	v_add_co_ci_u32_e32 v21, vcc_lo, s3, v19, vcc_lo
	v_add_co_u32 v22, vcc_lo, v20, s0
	s_delay_alu instid0(VALU_DEP_2) | instskip(NEXT) | instid1(VALU_DEP_2)
	;; [unrolled: 3-line block ×4, first 2 shown]
	v_add_co_ci_u32_e32 v27, vcc_lo, s3, v25, vcc_lo
	v_add_co_u32 v28, vcc_lo, v26, s0
	s_delay_alu instid0(VALU_DEP_2)
	v_add_co_ci_u32_e32 v29, vcc_lo, s3, v27, vcc_lo
	s_clause 0x4
	global_store_b64 v[36:37], v[0:1], off
	global_store_b64 v[38:39], v[2:3], off
	;; [unrolled: 1-line block ×9, first 2 shown]
.LBB0_23:
	s_nop 0
	s_sendmsg sendmsg(MSG_DEALLOC_VGPRS)
	s_endpgm
	.section	.rodata,"a",@progbits
	.p2align	6, 0x0
	.amdhsa_kernel bluestein_single_fwd_len819_dim1_sp_op_CI_CI
		.amdhsa_group_segment_fixed_size 6552
		.amdhsa_private_segment_fixed_size 0
		.amdhsa_kernarg_size 104
		.amdhsa_user_sgpr_count 15
		.amdhsa_user_sgpr_dispatch_ptr 0
		.amdhsa_user_sgpr_queue_ptr 0
		.amdhsa_user_sgpr_kernarg_segment_ptr 1
		.amdhsa_user_sgpr_dispatch_id 0
		.amdhsa_user_sgpr_private_segment_size 0
		.amdhsa_wavefront_size32 1
		.amdhsa_uses_dynamic_stack 0
		.amdhsa_enable_private_segment 0
		.amdhsa_system_sgpr_workgroup_id_x 1
		.amdhsa_system_sgpr_workgroup_id_y 0
		.amdhsa_system_sgpr_workgroup_id_z 0
		.amdhsa_system_sgpr_workgroup_info 0
		.amdhsa_system_vgpr_workitem_id 0
		.amdhsa_next_free_vgpr 189
		.amdhsa_next_free_sgpr 16
		.amdhsa_reserve_vcc 1
		.amdhsa_float_round_mode_32 0
		.amdhsa_float_round_mode_16_64 0
		.amdhsa_float_denorm_mode_32 3
		.amdhsa_float_denorm_mode_16_64 3
		.amdhsa_dx10_clamp 1
		.amdhsa_ieee_mode 1
		.amdhsa_fp16_overflow 0
		.amdhsa_workgroup_processor_mode 1
		.amdhsa_memory_ordered 1
		.amdhsa_forward_progress 0
		.amdhsa_shared_vgpr_count 0
		.amdhsa_exception_fp_ieee_invalid_op 0
		.amdhsa_exception_fp_denorm_src 0
		.amdhsa_exception_fp_ieee_div_zero 0
		.amdhsa_exception_fp_ieee_overflow 0
		.amdhsa_exception_fp_ieee_underflow 0
		.amdhsa_exception_fp_ieee_inexact 0
		.amdhsa_exception_int_div_zero 0
	.end_amdhsa_kernel
	.text
.Lfunc_end0:
	.size	bluestein_single_fwd_len819_dim1_sp_op_CI_CI, .Lfunc_end0-bluestein_single_fwd_len819_dim1_sp_op_CI_CI
                                        ; -- End function
	.section	.AMDGPU.csdata,"",@progbits
; Kernel info:
; codeLenInByte = 12588
; NumSgprs: 18
; NumVgprs: 189
; ScratchSize: 0
; MemoryBound: 0
; FloatMode: 240
; IeeeMode: 1
; LDSByteSize: 6552 bytes/workgroup (compile time only)
; SGPRBlocks: 2
; VGPRBlocks: 23
; NumSGPRsForWavesPerEU: 18
; NumVGPRsForWavesPerEU: 189
; Occupancy: 8
; WaveLimiterHint : 1
; COMPUTE_PGM_RSRC2:SCRATCH_EN: 0
; COMPUTE_PGM_RSRC2:USER_SGPR: 15
; COMPUTE_PGM_RSRC2:TRAP_HANDLER: 0
; COMPUTE_PGM_RSRC2:TGID_X_EN: 1
; COMPUTE_PGM_RSRC2:TGID_Y_EN: 0
; COMPUTE_PGM_RSRC2:TGID_Z_EN: 0
; COMPUTE_PGM_RSRC2:TIDIG_COMP_CNT: 0
	.text
	.p2alignl 7, 3214868480
	.fill 96, 4, 3214868480
	.type	__hip_cuid_4bb4892cd1dcf8b7,@object ; @__hip_cuid_4bb4892cd1dcf8b7
	.section	.bss,"aw",@nobits
	.globl	__hip_cuid_4bb4892cd1dcf8b7
__hip_cuid_4bb4892cd1dcf8b7:
	.byte	0                               ; 0x0
	.size	__hip_cuid_4bb4892cd1dcf8b7, 1

	.ident	"AMD clang version 19.0.0git (https://github.com/RadeonOpenCompute/llvm-project roc-6.4.0 25133 c7fe45cf4b819c5991fe208aaa96edf142730f1d)"
	.section	".note.GNU-stack","",@progbits
	.addrsig
	.addrsig_sym __hip_cuid_4bb4892cd1dcf8b7
	.amdgpu_metadata
---
amdhsa.kernels:
  - .args:
      - .actual_access:  read_only
        .address_space:  global
        .offset:         0
        .size:           8
        .value_kind:     global_buffer
      - .actual_access:  read_only
        .address_space:  global
        .offset:         8
        .size:           8
        .value_kind:     global_buffer
      - .actual_access:  read_only
        .address_space:  global
        .offset:         16
        .size:           8
        .value_kind:     global_buffer
      - .actual_access:  read_only
        .address_space:  global
        .offset:         24
        .size:           8
        .value_kind:     global_buffer
      - .actual_access:  read_only
        .address_space:  global
        .offset:         32
        .size:           8
        .value_kind:     global_buffer
      - .offset:         40
        .size:           8
        .value_kind:     by_value
      - .address_space:  global
        .offset:         48
        .size:           8
        .value_kind:     global_buffer
      - .address_space:  global
        .offset:         56
        .size:           8
        .value_kind:     global_buffer
      - .address_space:  global
        .offset:         64
        .size:           8
        .value_kind:     global_buffer
      - .address_space:  global
        .offset:         72
        .size:           8
        .value_kind:     global_buffer
      - .offset:         80
        .size:           4
        .value_kind:     by_value
      - .address_space:  global
        .offset:         88
        .size:           8
        .value_kind:     global_buffer
      - .address_space:  global
        .offset:         96
        .size:           8
        .value_kind:     global_buffer
    .group_segment_fixed_size: 6552
    .kernarg_segment_align: 8
    .kernarg_segment_size: 104
    .language:       OpenCL C
    .language_version:
      - 2
      - 0
    .max_flat_workgroup_size: 117
    .name:           bluestein_single_fwd_len819_dim1_sp_op_CI_CI
    .private_segment_fixed_size: 0
    .sgpr_count:     18
    .sgpr_spill_count: 0
    .symbol:         bluestein_single_fwd_len819_dim1_sp_op_CI_CI.kd
    .uniform_work_group_size: 1
    .uses_dynamic_stack: false
    .vgpr_count:     189
    .vgpr_spill_count: 0
    .wavefront_size: 32
    .workgroup_processor_mode: 1
amdhsa.target:   amdgcn-amd-amdhsa--gfx1100
amdhsa.version:
  - 1
  - 2
...

	.end_amdgpu_metadata
